;; amdgpu-corpus repo=ROCm/rocFFT kind=compiled arch=gfx906 opt=O3
	.text
	.amdgcn_target "amdgcn-amd-amdhsa--gfx906"
	.amdhsa_code_object_version 6
	.protected	fft_rtc_back_len238_factors_17_7_2_wgs_51_tpt_17_halfLds_half_op_CI_CI_unitstride_sbrr_R2C_dirReg ; -- Begin function fft_rtc_back_len238_factors_17_7_2_wgs_51_tpt_17_halfLds_half_op_CI_CI_unitstride_sbrr_R2C_dirReg
	.globl	fft_rtc_back_len238_factors_17_7_2_wgs_51_tpt_17_halfLds_half_op_CI_CI_unitstride_sbrr_R2C_dirReg
	.p2align	8
	.type	fft_rtc_back_len238_factors_17_7_2_wgs_51_tpt_17_halfLds_half_op_CI_CI_unitstride_sbrr_R2C_dirReg,@function
fft_rtc_back_len238_factors_17_7_2_wgs_51_tpt_17_halfLds_half_op_CI_CI_unitstride_sbrr_R2C_dirReg: ; @fft_rtc_back_len238_factors_17_7_2_wgs_51_tpt_17_halfLds_half_op_CI_CI_unitstride_sbrr_R2C_dirReg
; %bb.0:
	s_load_dwordx4 s[8:11], s[4:5], 0x58
	s_load_dwordx4 s[12:15], s[4:5], 0x0
	;; [unrolled: 1-line block ×3, first 2 shown]
	v_mul_u32_u24_e32 v1, 0xf10, v0
	v_lshrrev_b32_e32 v1, 16, v1
	v_mad_u64_u32 v[3:4], s[0:1], s6, 3, v[1:2]
	v_mov_b32_e32 v9, 0
	v_mov_b32_e32 v4, v9
	s_waitcnt lgkmcnt(0)
	v_cmp_lt_u64_e64 s[0:1], s[14:15], 2
	v_mov_b32_e32 v7, 0
	v_mov_b32_e32 v8, 0
	;; [unrolled: 1-line block ×4, first 2 shown]
	s_and_b64 vcc, exec, s[0:1]
	v_mov_b32_e32 v2, v8
	v_mov_b32_e32 v5, v3
	s_cbranch_vccnz .LBB0_8
; %bb.1:
	s_load_dwordx2 s[0:1], s[4:5], 0x10
	s_add_u32 s2, s18, 8
	s_addc_u32 s3, s19, 0
	s_add_u32 s6, s16, 8
	s_addc_u32 s7, s17, 0
	v_mov_b32_e32 v7, 0
	s_waitcnt lgkmcnt(0)
	s_add_u32 s20, s0, 8
	v_mov_b32_e32 v8, 0
	v_mov_b32_e32 v1, v7
	;; [unrolled: 1-line block ×3, first 2 shown]
	s_addc_u32 s21, s1, 0
	s_mov_b64 s[22:23], 1
	v_mov_b32_e32 v2, v8
	v_mov_b32_e32 v11, v3
.LBB0_2:                                ; =>This Inner Loop Header: Depth=1
	s_load_dwordx2 s[24:25], s[20:21], 0x0
                                        ; implicit-def: $vgpr5_vgpr6
	s_waitcnt lgkmcnt(0)
	v_or_b32_e32 v10, s25, v12
	v_cmp_ne_u64_e32 vcc, 0, v[9:10]
	s_and_saveexec_b64 s[0:1], vcc
	s_xor_b64 s[26:27], exec, s[0:1]
	s_cbranch_execz .LBB0_4
; %bb.3:                                ;   in Loop: Header=BB0_2 Depth=1
	v_cvt_f32_u32_e32 v4, s24
	v_cvt_f32_u32_e32 v5, s25
	s_sub_u32 s0, 0, s24
	s_subb_u32 s1, 0, s25
	v_mac_f32_e32 v4, 0x4f800000, v5
	v_rcp_f32_e32 v4, v4
	v_mul_f32_e32 v4, 0x5f7ffffc, v4
	v_mul_f32_e32 v5, 0x2f800000, v4
	v_trunc_f32_e32 v5, v5
	v_mac_f32_e32 v4, 0xcf800000, v5
	v_cvt_u32_f32_e32 v5, v5
	v_cvt_u32_f32_e32 v4, v4
	v_mul_lo_u32 v6, s0, v5
	v_mul_hi_u32 v10, s0, v4
	v_mul_lo_u32 v14, s1, v4
	v_mul_lo_u32 v13, s0, v4
	v_add_u32_e32 v6, v10, v6
	v_add_u32_e32 v6, v6, v14
	v_mul_hi_u32 v10, v4, v13
	v_mul_lo_u32 v14, v4, v6
	v_mul_hi_u32 v16, v4, v6
	v_mul_hi_u32 v15, v5, v13
	v_mul_lo_u32 v13, v5, v13
	v_mul_hi_u32 v17, v5, v6
	v_add_co_u32_e32 v10, vcc, v10, v14
	v_addc_co_u32_e32 v14, vcc, 0, v16, vcc
	v_mul_lo_u32 v6, v5, v6
	v_add_co_u32_e32 v10, vcc, v10, v13
	v_addc_co_u32_e32 v10, vcc, v14, v15, vcc
	v_addc_co_u32_e32 v13, vcc, 0, v17, vcc
	v_add_co_u32_e32 v6, vcc, v10, v6
	v_addc_co_u32_e32 v10, vcc, 0, v13, vcc
	v_add_co_u32_e32 v4, vcc, v4, v6
	v_addc_co_u32_e32 v5, vcc, v5, v10, vcc
	v_mul_lo_u32 v6, s0, v5
	v_mul_hi_u32 v10, s0, v4
	v_mul_lo_u32 v13, s1, v4
	v_mul_lo_u32 v14, s0, v4
	v_add_u32_e32 v6, v10, v6
	v_add_u32_e32 v6, v6, v13
	v_mul_lo_u32 v15, v4, v6
	v_mul_hi_u32 v16, v4, v14
	v_mul_hi_u32 v17, v4, v6
	;; [unrolled: 1-line block ×3, first 2 shown]
	v_mul_lo_u32 v14, v5, v14
	v_mul_hi_u32 v10, v5, v6
	v_add_co_u32_e32 v15, vcc, v16, v15
	v_addc_co_u32_e32 v16, vcc, 0, v17, vcc
	v_mul_lo_u32 v6, v5, v6
	v_add_co_u32_e32 v14, vcc, v15, v14
	v_addc_co_u32_e32 v13, vcc, v16, v13, vcc
	v_addc_co_u32_e32 v10, vcc, 0, v10, vcc
	v_add_co_u32_e32 v6, vcc, v13, v6
	v_addc_co_u32_e32 v10, vcc, 0, v10, vcc
	v_add_co_u32_e32 v6, vcc, v4, v6
	v_addc_co_u32_e32 v10, vcc, v5, v10, vcc
	v_mad_u64_u32 v[4:5], s[0:1], v11, v10, 0
	v_mul_hi_u32 v13, v11, v6
	v_add_co_u32_e32 v15, vcc, v13, v4
	v_addc_co_u32_e32 v16, vcc, 0, v5, vcc
	v_mad_u64_u32 v[4:5], s[0:1], v12, v6, 0
	v_mad_u64_u32 v[13:14], s[0:1], v12, v10, 0
	v_add_co_u32_e32 v4, vcc, v15, v4
	v_addc_co_u32_e32 v4, vcc, v16, v5, vcc
	v_addc_co_u32_e32 v5, vcc, 0, v14, vcc
	v_add_co_u32_e32 v10, vcc, v4, v13
	v_addc_co_u32_e32 v6, vcc, 0, v5, vcc
	v_mul_lo_u32 v13, s25, v10
	v_mul_lo_u32 v14, s24, v6
	v_mad_u64_u32 v[4:5], s[0:1], s24, v10, 0
	v_add3_u32 v5, v5, v14, v13
	v_sub_u32_e32 v13, v12, v5
	v_mov_b32_e32 v14, s25
	v_sub_co_u32_e32 v4, vcc, v11, v4
	v_subb_co_u32_e64 v13, s[0:1], v13, v14, vcc
	v_subrev_co_u32_e64 v14, s[0:1], s24, v4
	v_subbrev_co_u32_e64 v13, s[0:1], 0, v13, s[0:1]
	v_cmp_le_u32_e64 s[0:1], s25, v13
	v_cndmask_b32_e64 v15, 0, -1, s[0:1]
	v_cmp_le_u32_e64 s[0:1], s24, v14
	v_cndmask_b32_e64 v14, 0, -1, s[0:1]
	v_cmp_eq_u32_e64 s[0:1], s25, v13
	v_cndmask_b32_e64 v13, v15, v14, s[0:1]
	v_add_co_u32_e64 v14, s[0:1], 2, v10
	v_addc_co_u32_e64 v15, s[0:1], 0, v6, s[0:1]
	v_add_co_u32_e64 v16, s[0:1], 1, v10
	v_addc_co_u32_e64 v17, s[0:1], 0, v6, s[0:1]
	v_subb_co_u32_e32 v5, vcc, v12, v5, vcc
	v_cmp_ne_u32_e64 s[0:1], 0, v13
	v_cmp_le_u32_e32 vcc, s25, v5
	v_cndmask_b32_e64 v13, v17, v15, s[0:1]
	v_cndmask_b32_e64 v15, 0, -1, vcc
	v_cmp_le_u32_e32 vcc, s24, v4
	v_cndmask_b32_e64 v4, 0, -1, vcc
	v_cmp_eq_u32_e32 vcc, s25, v5
	v_cndmask_b32_e32 v4, v15, v4, vcc
	v_cmp_ne_u32_e32 vcc, 0, v4
	v_cndmask_b32_e64 v4, v16, v14, s[0:1]
	v_cndmask_b32_e32 v6, v6, v13, vcc
	v_cndmask_b32_e32 v5, v10, v4, vcc
.LBB0_4:                                ;   in Loop: Header=BB0_2 Depth=1
	s_andn2_saveexec_b64 s[0:1], s[26:27]
	s_cbranch_execz .LBB0_6
; %bb.5:                                ;   in Loop: Header=BB0_2 Depth=1
	v_cvt_f32_u32_e32 v4, s24
	s_sub_i32 s26, 0, s24
	v_rcp_iflag_f32_e32 v4, v4
	v_mul_f32_e32 v4, 0x4f7ffffe, v4
	v_cvt_u32_f32_e32 v4, v4
	v_mul_lo_u32 v5, s26, v4
	v_mul_hi_u32 v5, v4, v5
	v_add_u32_e32 v4, v4, v5
	v_mul_hi_u32 v4, v11, v4
	v_mul_lo_u32 v5, v4, s24
	v_add_u32_e32 v6, 1, v4
	v_sub_u32_e32 v5, v11, v5
	v_subrev_u32_e32 v10, s24, v5
	v_cmp_le_u32_e32 vcc, s24, v5
	v_cndmask_b32_e32 v5, v5, v10, vcc
	v_cndmask_b32_e32 v4, v4, v6, vcc
	v_add_u32_e32 v6, 1, v4
	v_cmp_le_u32_e32 vcc, s24, v5
	v_cndmask_b32_e32 v5, v4, v6, vcc
	v_mov_b32_e32 v6, v9
.LBB0_6:                                ;   in Loop: Header=BB0_2 Depth=1
	s_or_b64 exec, exec, s[0:1]
	v_mul_lo_u32 v4, v6, s24
	v_mul_lo_u32 v10, v5, s25
	v_mad_u64_u32 v[13:14], s[0:1], v5, s24, 0
	s_load_dwordx2 s[0:1], s[6:7], 0x0
	s_load_dwordx2 s[24:25], s[2:3], 0x0
	v_add3_u32 v4, v14, v10, v4
	v_sub_co_u32_e32 v10, vcc, v11, v13
	v_subb_co_u32_e32 v4, vcc, v12, v4, vcc
	s_waitcnt lgkmcnt(0)
	v_mul_lo_u32 v11, s0, v4
	v_mul_lo_u32 v12, s1, v10
	v_mad_u64_u32 v[7:8], s[0:1], s0, v10, v[7:8]
	s_add_u32 s22, s22, 1
	s_addc_u32 s23, s23, 0
	s_add_u32 s2, s2, 8
	v_mul_lo_u32 v4, s24, v4
	v_mul_lo_u32 v13, s25, v10
	v_mad_u64_u32 v[1:2], s[0:1], s24, v10, v[1:2]
	v_add3_u32 v8, v12, v8, v11
	s_addc_u32 s3, s3, 0
	v_mov_b32_e32 v10, s14
	s_add_u32 s6, s6, 8
	v_mov_b32_e32 v11, s15
	s_addc_u32 s7, s7, 0
	v_cmp_ge_u64_e32 vcc, s[22:23], v[10:11]
	s_add_u32 s20, s20, 8
	v_add3_u32 v2, v13, v2, v4
	s_addc_u32 s21, s21, 0
	s_cbranch_vccnz .LBB0_8
; %bb.7:                                ;   in Loop: Header=BB0_2 Depth=1
	v_mov_b32_e32 v12, v6
	v_mov_b32_e32 v11, v5
	s_branch .LBB0_2
.LBB0_8:
	s_mov_b32 s2, 0xaaaaaaab
	s_load_dwordx2 s[0:1], s[4:5], 0x28
	v_mul_hi_u32 v4, v3, s2
	s_lshl_b64 s[6:7], s[14:15], 3
	s_add_u32 s2, s18, s6
	s_addc_u32 s3, s19, s7
	v_lshrrev_b32_e32 v4, 1, v4
	v_lshl_add_u32 v4, v4, 1, v4
	s_waitcnt lgkmcnt(0)
	v_cmp_gt_u64_e32 vcc, s[0:1], v[5:6]
	v_cmp_le_u64_e64 s[0:1], s[0:1], v[5:6]
	v_sub_u32_e32 v4, v3, v4
                                        ; implicit-def: $vgpr3
	s_and_saveexec_b64 s[4:5], s[0:1]
	s_xor_b64 s[0:1], exec, s[4:5]
; %bb.9:
	s_mov_b32 s4, 0xf0f0f10
	v_mul_hi_u32 v3, v0, s4
                                        ; implicit-def: $vgpr7_vgpr8
	v_mul_u32_u24_e32 v3, 17, v3
	v_sub_u32_e32 v3, v0, v3
                                        ; implicit-def: $vgpr0
; %bb.10:
	s_or_saveexec_b64 s[4:5], s[0:1]
	v_mul_u32_u24_e32 v24, 0xef, v4
	v_lshlrev_b32_e32 v28, 2, v24
	s_xor_b64 exec, exec, s[4:5]
	s_cbranch_execz .LBB0_12
; %bb.11:
	s_add_u32 s0, s16, s6
	s_addc_u32 s1, s17, s7
	s_load_dwordx2 s[0:1], s[0:1], 0x0
	s_mov_b32 s6, 0xf0f0f10
	v_mul_hi_u32 v3, v0, s6
	v_lshlrev_b64 v[7:8], 2, v[7:8]
	s_waitcnt lgkmcnt(0)
	v_mul_lo_u32 v4, s1, v5
	v_mul_lo_u32 v11, s0, v6
	v_mad_u64_u32 v[9:10], s[0:1], s0, v5, 0
	v_mul_u32_u24_e32 v3, 17, v3
	v_sub_u32_e32 v3, v0, v3
	v_add3_u32 v10, v10, v11, v4
	v_lshlrev_b64 v[9:10], 2, v[9:10]
	v_mov_b32_e32 v0, s9
	v_add_co_u32_e64 v4, s[0:1], s8, v9
	v_addc_co_u32_e64 v0, s[0:1], v0, v10, s[0:1]
	v_add_co_u32_e64 v4, s[0:1], v4, v7
	v_addc_co_u32_e64 v0, s[0:1], v0, v8, s[0:1]
	v_lshlrev_b32_e32 v9, 2, v3
	v_add_co_u32_e64 v7, s[0:1], v4, v9
	v_addc_co_u32_e64 v8, s[0:1], 0, v0, s[0:1]
	global_load_dword v0, v[7:8], off
	global_load_dword v4, v[7:8], off offset:68
	global_load_dword v10, v[7:8], off offset:136
	;; [unrolled: 1-line block ×13, first 2 shown]
	v_add3_u32 v7, 0, v28, v9
	s_waitcnt vmcnt(12)
	ds_write2_b32 v7, v0, v4 offset1:17
	s_waitcnt vmcnt(10)
	ds_write2_b32 v7, v10, v11 offset0:34 offset1:51
	s_waitcnt vmcnt(8)
	ds_write2_b32 v7, v12, v13 offset0:68 offset1:85
	s_waitcnt vmcnt(6)
	ds_write2_b32 v7, v14, v15 offset0:102 offset1:119
	s_waitcnt vmcnt(4)
	ds_write2_b32 v7, v16, v17 offset0:136 offset1:153
	s_waitcnt vmcnt(2)
	ds_write2_b32 v7, v18, v19 offset0:170 offset1:187
	s_waitcnt vmcnt(0)
	ds_write2_b32 v7, v20, v21 offset0:204 offset1:221
.LBB0_12:
	s_or_b64 exec, exec, s[4:5]
	v_lshlrev_b32_e32 v25, 2, v3
	v_add_u32_e32 v27, 0, v25
	v_add_u32_e32 v0, 0, v28
	;; [unrolled: 1-line block ×3, first 2 shown]
	s_waitcnt lgkmcnt(0)
	; wave barrier
	s_waitcnt lgkmcnt(0)
	v_add_u32_e32 v23, v0, v25
	ds_read2_b32 v[19:20], v26 offset0:14 offset1:28
	ds_read_b32 v4, v23
	ds_read2_b32 v[15:16], v26 offset0:42 offset1:56
	ds_read2_b32 v[11:12], v26 offset0:70 offset1:84
	;; [unrolled: 1-line block ×7, first 2 shown]
	v_cmp_gt_u32_e64 s[0:1], 14, v3
	s_waitcnt lgkmcnt(0)
	; wave barrier
	s_waitcnt lgkmcnt(0)
	s_and_saveexec_b64 s[4:5], s[0:1]
	s_cbranch_execz .LBB0_14
; %bb.13:
	v_pk_add_f16 v29, v4, v19
	v_pk_add_f16 v29, v29, v20
	;; [unrolled: 1-line block ×16, first 2 shown]
	v_pk_add_f16 v29, v19, v22 neg_lo:[0,1] neg_hi:[0,1]
	v_pk_add_f16 v22, v22, v19
	v_mul_f16_e32 v44, 0xbbf7, v29
	v_lshrrev_b32_e32 v45, 16, v22
	s_movk_i32 s1, 0x2de8
	v_mul_u32_u24_e32 v30, 0x44, v3
	v_fma_f16 v19, v45, s1, v44
	v_add3_u32 v28, 0, v30, v28
	v_add_f16_sdwa v30, v4, v19 dst_sel:DWORD dst_unused:UNUSED_PAD src0_sel:WORD_1 src1_sel:DWORD
	v_pk_add_f16 v19, v20, v21 neg_lo:[0,1] neg_hi:[0,1]
	v_pk_add_f16 v21, v21, v20
	v_mul_f16_e32 v47, 0xb1e1, v19
	v_lshrrev_b32_e32 v46, 16, v21
	s_mov_b32 s9, 0xbbdd
	v_fma_f16 v20, v46, s9, v47
	v_add_f16_e32 v30, v20, v30
	v_pk_add_f16 v20, v15, v18 neg_lo:[0,1] neg_hi:[0,1]
	v_pk_add_f16 v18, v18, v15
	v_mul_f16_e32 v50, 0x3bb2, v20
	v_lshrrev_b32_e32 v48, 16, v18
	s_mov_b32 s8, 0xb461
	v_fma_f16 v15, v48, s8, v50
	v_add_f16_e32 v30, v15, v30
	v_pk_add_f16 v15, v16, v17 neg_lo:[0,1] neg_hi:[0,1]
	v_pk_add_f16 v17, v17, v16
	v_mul_f16_e32 v51, 0x35c8, v15
	v_lshrrev_b32_e32 v49, 16, v17
	s_movk_i32 s15, 0x3b76
	v_fma_f16 v16, v49, s15, v51
	v_add_f16_e32 v30, v16, v30
	v_pk_add_f16 v16, v11, v14 neg_lo:[0,1] neg_hi:[0,1]
	v_pk_add_f16 v14, v14, v11
	v_mul_f16_e32 v52, 0xbb29, v16
	v_lshrrev_b32_e32 v53, 16, v14
	s_movk_i32 s16, 0x3722
	v_fma_f16 v11, v53, s16, v52
	v_add_f16_e32 v31, v11, v30
	v_pk_add_f16 v11, v12, v13 neg_lo:[0,1] neg_hi:[0,1]
	v_pk_add_f16 v30, v13, v12
	v_mul_f16_e32 v54, 0xb836, v11
	v_lshrrev_b32_e32 v55, 16, v30
	s_mov_b32 s18, 0xbacd
	v_fma_f16 v12, v55, s18, v54
	v_add_f16_e32 v13, v12, v31
	v_pk_add_f16 v12, v7, v10 neg_lo:[0,1] neg_hi:[0,1]
	v_pk_add_f16 v31, v10, v7
	v_mul_f16_e32 v56, 0x3a62, v12
	v_lshrrev_b32_e32 v57, 16, v31
	s_mov_b32 s19, 0xb8d2
	v_fma_f16 v7, v57, s19, v56
	v_add_f16_e32 v7, v7, v13
	v_pk_add_f16 v13, v8, v9 neg_lo:[0,1] neg_hi:[0,1]
	v_pk_add_f16 v32, v9, v8
	s_mov_b32 s24, 0xbbf7
	v_mul_f16_e32 v58, 0x3964, v13
	v_lshrrev_b32_e32 v59, 16, v32
	s_movk_i32 s21, 0x39e9
	s_mov_b32 s0, 0xb1e1
	v_fma_f16 v8, v59, s21, v58
	v_mul_f16_sdwa v60, v29, s24 dst_sel:DWORD dst_unused:UNUSED_PAD src0_sel:WORD_1 src1_sel:DWORD
	s_movk_i32 s25, 0x3bb2
	v_add_f16_e32 v7, v8, v7
	v_fma_f16 v8, v22, s1, -v60
	v_mul_f16_sdwa v61, v19, s0 dst_sel:DWORD dst_unused:UNUSED_PAD src0_sel:WORD_1 src1_sel:DWORD
	s_movk_i32 s6, 0x35c8
	v_add_f16_e32 v8, v4, v8
	v_fma_f16 v9, v21, s9, -v61
	v_mul_f16_sdwa v62, v20, s25 dst_sel:DWORD dst_unused:UNUSED_PAD src0_sel:WORD_1 src1_sel:DWORD
	s_mov_b32 s26, 0xbb29
	v_add_f16_e32 v8, v9, v8
	v_fma_f16 v9, v18, s8, -v62
	v_mul_f16_sdwa v63, v15, s6 dst_sel:DWORD dst_unused:UNUSED_PAD src0_sel:WORD_1 src1_sel:DWORD
	s_mov_b32 s7, 0xb836
	v_add_f16_e32 v8, v9, v8
	v_fma_f16 v9, v17, s15, -v63
	v_mul_f16_sdwa v64, v16, s26 dst_sel:DWORD dst_unused:UNUSED_PAD src0_sel:WORD_1 src1_sel:DWORD
	s_movk_i32 s28, 0x3a62
	v_add_f16_e32 v8, v9, v8
	v_fma_f16 v9, v14, s16, -v64
	v_mul_f16_sdwa v65, v11, s7 dst_sel:DWORD dst_unused:UNUSED_PAD src0_sel:WORD_1 src1_sel:DWORD
	s_movk_i32 s14, 0x3964
	v_add_f16_e32 v8, v9, v8
	v_fma_f16 v9, v30, s18, -v65
	v_mul_f16_sdwa v66, v12, s28 dst_sel:DWORD dst_unused:UNUSED_PAD src0_sel:WORD_1 src1_sel:DWORD
	v_add_f16_e32 v8, v9, v8
	v_fma_f16 v9, v31, s19, -v66
	v_mul_f16_sdwa v67, v13, s14 dst_sel:DWORD dst_unused:UNUSED_PAD src0_sel:WORD_1 src1_sel:DWORD
	v_add_f16_e32 v8, v9, v8
	v_fma_f16 v9, v32, s21, -v67
	v_mul_f16_e32 v42, 0xbbb2, v29
	v_add_f16_e32 v8, v9, v8
	v_fma_f16 v9, v45, s8, v42
	v_mul_f16_e32 v43, 0x3836, v19
	v_add_f16_sdwa v9, v4, v9 dst_sel:DWORD dst_unused:UNUSED_PAD src0_sel:WORD_1 src1_sel:DWORD
	v_fma_f16 v10, v46, s18, v43
	v_mul_f16_e32 v68, 0x3964, v20
	v_add_f16_e32 v9, v10, v9
	v_fma_f16 v10, v48, s21, v68
	v_mul_f16_e32 v69, 0xbb29, v15
	v_add_f16_e32 v9, v10, v9
	v_fma_f16 v10, v49, s16, v69
	v_mul_f16_e32 v70, 0xb1e1, v16
	v_add_f16_e32 v9, v10, v9
	v_fma_f16 v10, v53, s9, v70
	v_mul_f16_e32 v71, 0x3bf7, v11
	v_add_f16_e32 v9, v10, v9
	v_fma_f16 v10, v55, s1, v71
	v_mul_f16_e32 v72, 0xb5c8, v12
	s_mov_b32 s17, 0xbbb2
	v_add_f16_e32 v9, v10, v9
	v_fma_f16 v10, v57, s15, v72
	v_mul_f16_e32 v73, 0xba62, v13
	s_movk_i32 s27, 0x3836
	v_add_f16_e32 v9, v10, v9
	v_fma_f16 v10, v59, s19, v73
	v_mul_f16_sdwa v74, v29, s17 dst_sel:DWORD dst_unused:UNUSED_PAD src0_sel:WORD_1 src1_sel:DWORD
	v_add_f16_e32 v9, v10, v9
	v_fma_f16 v10, v22, s8, -v74
	v_mul_f16_sdwa v75, v19, s27 dst_sel:DWORD dst_unused:UNUSED_PAD src0_sel:WORD_1 src1_sel:DWORD
	v_add_f16_e32 v10, v4, v10
	v_fma_f16 v33, v21, s18, -v75
	;; [unrolled: 3-line block ×3, first 2 shown]
	v_mul_f16_sdwa v77, v15, s26 dst_sel:DWORD dst_unused:UNUSED_PAD src0_sel:WORD_1 src1_sel:DWORD
	s_movk_i32 s20, 0x3bf7
	v_add_f16_e32 v10, v33, v10
	v_fma_f16 v33, v17, s16, -v77
	v_mul_f16_sdwa v78, v16, s0 dst_sel:DWORD dst_unused:UNUSED_PAD src0_sel:WORD_1 src1_sel:DWORD
	s_mov_b32 s29, 0xb5c8
	v_add_f16_e32 v10, v33, v10
	v_fma_f16 v33, v14, s9, -v78
	v_mul_f16_sdwa v79, v11, s20 dst_sel:DWORD dst_unused:UNUSED_PAD src0_sel:WORD_1 src1_sel:DWORD
	s_mov_b32 s22, 0xba62
	v_add_f16_e32 v10, v33, v10
	v_fma_f16 v33, v30, s1, -v79
	v_mul_f16_sdwa v80, v12, s29 dst_sel:DWORD dst_unused:UNUSED_PAD src0_sel:WORD_1 src1_sel:DWORD
	v_add_f16_e32 v10, v33, v10
	v_fma_f16 v33, v31, s15, -v80
	v_mul_f16_sdwa v81, v13, s22 dst_sel:DWORD dst_unused:UNUSED_PAD src0_sel:WORD_1 src1_sel:DWORD
	v_add_f16_e32 v10, v33, v10
	v_fma_f16 v33, v32, s19, -v81
	v_mul_f16_e32 v40, 0xba62, v29
	v_add_f16_e32 v10, v33, v10
	v_fma_f16 v33, v45, s19, v40
	v_mul_f16_e32 v41, 0x3bb2, v19
	v_add_f16_sdwa v33, v4, v33 dst_sel:DWORD dst_unused:UNUSED_PAD src0_sel:WORD_1 src1_sel:DWORD
	v_fma_f16 v34, v46, s8, v41
	v_mul_f16_e32 v82, 0xb5c8, v20
	v_add_f16_e32 v33, v34, v33
	v_fma_f16 v34, v48, s15, v82
	v_mul_f16_e32 v83, 0xb836, v15
	v_add_f16_e32 v33, v34, v33
	;; [unrolled: 3-line block ×6, first 2 shown]
	v_fma_f16 v34, v59, s16, v87
	v_mul_f16_sdwa v88, v29, s22 dst_sel:DWORD dst_unused:UNUSED_PAD src0_sel:WORD_1 src1_sel:DWORD
	v_add_f16_e32 v33, v34, v33
	v_fma_f16 v34, v22, s19, -v88
	v_mul_f16_sdwa v89, v19, s25 dst_sel:DWORD dst_unused:UNUSED_PAD src0_sel:WORD_1 src1_sel:DWORD
	v_fma_f16 v40, v45, s19, -v40
	v_add_f16_e32 v34, v4, v34
	v_fma_f16 v35, v21, s8, -v89
	v_mul_f16_sdwa v90, v20, s29 dst_sel:DWORD dst_unused:UNUSED_PAD src0_sel:WORD_1 src1_sel:DWORD
	v_add_f16_sdwa v40, v4, v40 dst_sel:DWORD dst_unused:UNUSED_PAD src0_sel:WORD_1 src1_sel:DWORD
	v_fma_f16 v41, v46, s8, -v41
	v_add_f16_e32 v34, v35, v34
	v_fma_f16 v35, v18, s15, -v90
	v_mul_f16_sdwa v91, v15, s7 dst_sel:DWORD dst_unused:UNUSED_PAD src0_sel:WORD_1 src1_sel:DWORD
	v_add_f16_e32 v40, v41, v40
	v_fma_f16 v41, v48, s15, -v82
	v_add_f16_e32 v34, v35, v34
	v_fma_f16 v35, v17, s18, -v91
	v_mul_f16_sdwa v92, v16, s20 dst_sel:DWORD dst_unused:UNUSED_PAD src0_sel:WORD_1 src1_sel:DWORD
	s_mov_b32 s30, 0xb964
	v_add_f16_e32 v40, v41, v40
	v_fma_f16 v41, v49, s18, -v83
	v_add_f16_e32 v34, v35, v34
	v_fma_f16 v35, v14, s1, -v92
	v_mul_f16_sdwa v93, v11, s30 dst_sel:DWORD dst_unused:UNUSED_PAD src0_sel:WORD_1 src1_sel:DWORD
	v_add_f16_e32 v40, v41, v40
	v_fma_f16 v41, v53, s1, -v84
	v_fma_f16 v44, v45, s1, -v44
	v_add_f16_e32 v34, v35, v34
	v_fma_f16 v35, v30, s21, -v93
	v_mul_f16_sdwa v94, v12, s0 dst_sel:DWORD dst_unused:UNUSED_PAD src0_sel:WORD_1 src1_sel:DWORD
	s_movk_i32 s23, 0x3b29
	v_add_f16_e32 v40, v41, v40
	v_fma_f16 v41, v55, s21, -v85
	v_add_f16_sdwa v44, v4, v44 dst_sel:DWORD dst_unused:UNUSED_PAD src0_sel:WORD_1 src1_sel:DWORD
	v_fma_f16 v47, v46, s9, -v47
	v_add_f16_e32 v34, v35, v34
	v_fma_f16 v35, v31, s9, -v94
	v_mul_f16_sdwa v95, v13, s23 dst_sel:DWORD dst_unused:UNUSED_PAD src0_sel:WORD_1 src1_sel:DWORD
	v_add_f16_e32 v40, v41, v40
	v_fma_f16 v41, v57, s9, -v86
	v_add_f16_e32 v44, v47, v44
	v_fma_f16 v47, v48, s8, -v50
	;; [unrolled: 2-line block ×3, first 2 shown]
	v_mul_f16_e32 v38, 0xb836, v29
	v_add_f16_e32 v40, v41, v40
	v_fma_f16 v41, v59, s16, -v87
	v_add_f16_e32 v44, v47, v44
	v_fma_f16 v47, v49, s15, -v51
	v_add_f16_e32 v34, v35, v34
	v_fma_f16 v35, v45, s18, v38
	v_mul_f16_e32 v39, 0x3b29, v19
	v_add_f16_e32 v40, v41, v40
	v_fma_f16 v41, v22, s19, v88
	v_add_f16_e32 v44, v47, v44
	v_fma_f16 v47, v53, s16, -v52
	v_add_f16_sdwa v35, v4, v35 dst_sel:DWORD dst_unused:UNUSED_PAD src0_sel:WORD_1 src1_sel:DWORD
	v_fma_f16 v36, v46, s16, v39
	v_mul_f16_e32 v96, 0xbbf7, v20
	v_add_f16_e32 v41, v4, v41
	v_fma_f16 v82, v21, s8, v89
	v_fma_f16 v42, v45, s8, -v42
	v_add_f16_e32 v44, v47, v44
	v_fma_f16 v47, v55, s18, -v54
	v_add_f16_e32 v35, v36, v35
	v_fma_f16 v36, v48, s1, v96
	v_mul_f16_e32 v97, 0x3a62, v15
	v_add_f16_e32 v41, v82, v41
	v_fma_f16 v82, v18, s15, v90
	v_add_f16_sdwa v42, v4, v42 dst_sel:DWORD dst_unused:UNUSED_PAD src0_sel:WORD_1 src1_sel:DWORD
	v_fma_f16 v43, v46, s18, -v43
	v_add_f16_e32 v44, v47, v44
	v_fma_f16 v47, v57, s19, -v56
	v_add_f16_e32 v35, v36, v35
	v_fma_f16 v36, v49, s19, v97
	v_mul_f16_e32 v98, 0xb5c8, v16
	v_add_f16_e32 v41, v82, v41
	v_fma_f16 v82, v17, s18, v91
	v_add_f16_e32 v42, v43, v42
	v_fma_f16 v43, v48, s21, -v68
	v_add_f16_e32 v44, v47, v44
	v_fma_f16 v47, v59, s21, -v58
	v_add_f16_e32 v35, v36, v35
	v_fma_f16 v36, v53, s15, v98
	v_mul_f16_e32 v99, 0xb1e1, v11
	v_add_f16_e32 v41, v82, v41
	v_fma_f16 v82, v14, s1, v92
	v_add_f16_e32 v42, v43, v42
	v_fma_f16 v43, v49, s16, -v69
	v_add_f16_e32 v44, v47, v44
	v_fma_f16 v47, v22, s1, v60
	v_add_f16_e32 v35, v36, v35
	v_fma_f16 v36, v55, s9, v99
	v_mul_f16_e32 v100, 0x3964, v12
	v_add_f16_e32 v41, v82, v41
	v_fma_f16 v82, v30, s21, v93
	v_add_f16_e32 v42, v43, v42
	v_fma_f16 v43, v53, s9, -v70
	v_add_f16_e32 v47, v4, v47
	v_fma_f16 v50, v21, s9, v61
	v_add_f16_e32 v35, v36, v35
	v_fma_f16 v36, v57, s21, v100
	v_mul_f16_e32 v101, 0xbbb2, v13
	v_fma_f16 v38, v45, s18, -v38
	v_add_f16_e32 v41, v82, v41
	v_fma_f16 v82, v31, s9, v94
	v_add_f16_e32 v42, v43, v42
	v_fma_f16 v43, v55, s1, -v71
	v_add_f16_e32 v47, v50, v47
	v_fma_f16 v50, v18, s8, v62
	v_add_f16_e32 v35, v36, v35
	v_fma_f16 v36, v59, s8, v101
	v_mul_f16_sdwa v102, v29, s7 dst_sel:DWORD dst_unused:UNUSED_PAD src0_sel:WORD_1 src1_sel:DWORD
	v_add_f16_sdwa v38, v4, v38 dst_sel:DWORD dst_unused:UNUSED_PAD src0_sel:WORD_1 src1_sel:DWORD
	v_fma_f16 v39, v46, s16, -v39
	v_add_f16_e32 v41, v82, v41
	v_fma_f16 v82, v32, s16, v95
	v_add_f16_e32 v42, v43, v42
	v_fma_f16 v43, v57, s15, -v72
	v_add_f16_e32 v47, v50, v47
	v_fma_f16 v50, v17, s15, v63
	v_add_f16_e32 v35, v36, v35
	v_fma_f16 v36, v22, s18, -v102
	v_mul_f16_sdwa v103, v19, s23 dst_sel:DWORD dst_unused:UNUSED_PAD src0_sel:WORD_1 src1_sel:DWORD
	v_add_f16_e32 v38, v39, v38
	v_fma_f16 v39, v48, s1, -v96
	v_add_f16_e32 v41, v82, v41
	v_add_f16_e32 v42, v43, v42
	v_fma_f16 v43, v59, s19, -v73
	v_add_f16_e32 v47, v50, v47
	v_fma_f16 v50, v14, s16, v64
	v_mul_f16_e32 v82, 0x39e9, v45
	v_add_f16_e32 v36, v4, v36
	v_fma_f16 v104, v21, s16, -v103
	v_add_f16_e32 v38, v39, v38
	v_fma_f16 v39, v49, s19, -v97
	v_add_f16_e32 v42, v43, v42
	v_fma_f16 v43, v22, s8, v74
	v_add_f16_e32 v47, v50, v47
	v_fma_f16 v50, v30, s18, v65
	v_mul_f16_e32 v62, 0x3722, v45
	v_fma_f16 v45, v29, s14, v82
	v_mul_f16_e32 v83, 0x2de8, v46
	v_add_f16_e32 v36, v104, v36
	v_mul_f16_sdwa v104, v20, s24 dst_sel:DWORD dst_unused:UNUSED_PAD src0_sel:WORD_1 src1_sel:DWORD
	v_add_f16_e32 v38, v39, v38
	v_fma_f16 v39, v53, s15, -v98
	v_add_f16_e32 v43, v4, v43
	v_fma_f16 v68, v21, s18, v75
	v_add_f16_e32 v47, v50, v47
	v_fma_f16 v50, v31, s19, v66
	v_mul_f16_e32 v63, 0xb8d2, v46
	v_add_f16_sdwa v45, v4, v45 dst_sel:DWORD dst_unused:UNUSED_PAD src0_sel:WORD_1 src1_sel:DWORD
	v_fma_f16 v46, v19, s20, v83
	v_mul_f16_e32 v84, 0xb8d2, v48
	v_fma_f16 v105, v18, s1, -v104
	v_add_f16_e32 v38, v39, v38
	v_fma_f16 v39, v55, s9, -v99
	v_add_f16_e32 v43, v68, v43
	v_fma_f16 v68, v18, s21, v76
	v_add_f16_e32 v47, v50, v47
	v_fma_f16 v50, v32, s21, v67
	s_movk_i32 s31, 0x31e1
	v_add_f16_e32 v45, v46, v45
	v_fma_f16 v46, v20, s28, v84
	v_mul_f16_e32 v85, 0xbbdd, v49
	v_add_f16_e32 v36, v105, v36
	v_mul_f16_sdwa v105, v15, s28 dst_sel:DWORD dst_unused:UNUSED_PAD src0_sel:WORD_1 src1_sel:DWORD
	v_add_f16_e32 v38, v39, v38
	v_fma_f16 v39, v57, s21, -v100
	v_add_f16_e32 v43, v68, v43
	v_fma_f16 v68, v17, s16, v77
	v_add_f16_e32 v47, v50, v47
	v_fma_f16 v50, v29, s23, v62
	;; [unrolled: 2-line block ×3, first 2 shown]
	v_mul_f16_e32 v86, 0xbacd, v53
	v_fma_f16 v106, v17, s19, -v105
	v_add_f16_e32 v38, v39, v38
	v_fma_f16 v39, v59, s8, -v101
	v_add_f16_e32 v43, v68, v43
	v_fma_f16 v68, v14, s9, v78
	v_add_f16_sdwa v50, v4, v50 dst_sel:DWORD dst_unused:UNUSED_PAD src0_sel:WORD_1 src1_sel:DWORD
	v_fma_f16 v51, v19, s28, v63
	v_mul_f16_e32 v64, 0xbbdd, v48
	v_add_f16_e32 v45, v46, v45
	v_fma_f16 v46, v16, s7, v86
	v_mul_f16_e32 v87, 0xb461, v55
	v_add_f16_e32 v36, v106, v36
	v_mul_f16_sdwa v106, v16, s29 dst_sel:DWORD dst_unused:UNUSED_PAD src0_sel:WORD_1 src1_sel:DWORD
	v_add_f16_e32 v38, v39, v38
	v_fma_f16 v39, v22, s18, v102
	v_add_f16_e32 v43, v68, v43
	v_fma_f16 v68, v30, s1, v79
	;; [unrolled: 2-line block ×3, first 2 shown]
	v_mul_f16_e32 v65, 0xb461, v49
	v_add_f16_e32 v45, v46, v45
	v_fma_f16 v46, v11, s17, v87
	v_mul_f16_e32 v88, 0x3722, v57
	v_fma_f16 v107, v14, s15, -v106
	v_add_f16_e32 v39, v4, v39
	v_fma_f16 v96, v21, s16, v103
	v_add_f16_e32 v43, v68, v43
	v_fma_f16 v68, v31, s15, v80
	;; [unrolled: 2-line block ×3, first 2 shown]
	v_mul_f16_e32 v70, 0x39e9, v53
	v_add_f16_e32 v45, v46, v45
	v_fma_f16 v46, v12, s26, v88
	v_mul_f16_e32 v89, 0x3b76, v59
	v_add_f16_e32 v36, v107, v36
	v_mul_f16_sdwa v107, v11, s0 dst_sel:DWORD dst_unused:UNUSED_PAD src0_sel:WORD_1 src1_sel:DWORD
	v_add_f16_e32 v39, v96, v39
	v_fma_f16 v96, v18, s1, v104
	v_add_f16_e32 v43, v68, v43
	v_fma_f16 v68, v32, s19, v81
	;; [unrolled: 2-line block ×3, first 2 shown]
	v_mul_f16_e32 v71, 0x3b76, v55
	v_add_f16_e32 v45, v46, v45
	v_fma_f16 v46, v13, s29, v89
	v_mul_f16_sdwa v90, v29, s30 dst_sel:DWORD dst_unused:UNUSED_PAD src0_sel:WORD_1 src1_sel:DWORD
	v_fma_f16 v108, v30, s9, -v107
	v_add_f16_e32 v39, v96, v39
	v_fma_f16 v96, v17, s19, v105
	v_add_f16_e32 v43, v68, v43
	v_add_f16_e32 v50, v51, v50
	v_fma_f16 v51, v11, s6, v71
	v_mul_f16_e32 v72, 0x2de8, v57
	v_add_f16_e32 v68, v46, v45
	v_fma_f16 v45, v22, s21, v90
	v_mul_f16_sdwa v91, v19, s24 dst_sel:DWORD dst_unused:UNUSED_PAD src0_sel:WORD_1 src1_sel:DWORD
	v_add_f16_e32 v36, v108, v36
	v_mul_f16_sdwa v108, v12, s14 dst_sel:DWORD dst_unused:UNUSED_PAD src0_sel:WORD_1 src1_sel:DWORD
	v_add_f16_e32 v39, v96, v39
	v_fma_f16 v96, v14, s15, v106
	v_add_f16_e32 v50, v51, v50
	v_fma_f16 v51, v12, s20, v72
	v_mul_f16_e32 v73, 0xbacd, v59
	v_add_f16_e32 v45, v4, v45
	v_fma_f16 v46, v21, s1, v91
	v_mul_f16_sdwa v92, v20, s22 dst_sel:DWORD dst_unused:UNUSED_PAD src0_sel:WORD_1 src1_sel:DWORD
	v_fma_f16 v109, v31, s21, -v108
	v_add_f16_e32 v39, v96, v39
	v_fma_f16 v96, v30, s9, v107
	v_add_f16_e32 v50, v51, v50
	v_fma_f16 v51, v13, s27, v73
	v_mul_f16_sdwa v74, v29, s26 dst_sel:DWORD dst_unused:UNUSED_PAD src0_sel:WORD_1 src1_sel:DWORD
	v_add_f16_e32 v45, v46, v45
	v_fma_f16 v46, v18, s19, v92
	v_mul_f16_sdwa v93, v15, s0 dst_sel:DWORD dst_unused:UNUSED_PAD src0_sel:WORD_1 src1_sel:DWORD
	v_add_f16_e32 v36, v109, v36
	v_mul_f16_sdwa v109, v13, s17 dst_sel:DWORD dst_unused:UNUSED_PAD src0_sel:WORD_1 src1_sel:DWORD
	v_add_f16_e32 v39, v96, v39
	v_fma_f16 v96, v31, s21, v108
	v_add_f16_e32 v66, v51, v50
	v_fma_f16 v50, v22, s16, v74
	v_mul_f16_sdwa v75, v19, s22 dst_sel:DWORD dst_unused:UNUSED_PAD src0_sel:WORD_1 src1_sel:DWORD
	v_add_f16_e32 v45, v46, v45
	v_fma_f16 v46, v17, s9, v93
	v_mul_f16_sdwa v94, v16, s27 dst_sel:DWORD dst_unused:UNUSED_PAD src0_sel:WORD_1 src1_sel:DWORD
	v_add_f16_e32 v39, v96, v39
	v_fma_f16 v96, v32, s8, v109
	v_add_f16_e32 v50, v4, v50
	v_fma_f16 v51, v21, s19, v75
	v_mul_f16_sdwa v76, v20, s31 dst_sel:DWORD dst_unused:UNUSED_PAD src0_sel:WORD_1 src1_sel:DWORD
	v_add_f16_e32 v45, v46, v45
	v_fma_f16 v46, v14, s18, v94
	v_mul_f16_sdwa v95, v11, s25 dst_sel:DWORD dst_unused:UNUSED_PAD src0_sel:WORD_1 src1_sel:DWORD
	v_add_f16_e32 v39, v96, v39
	v_add_f16_e32 v50, v51, v50
	v_fma_f16 v51, v18, s9, v76
	v_mul_f16_sdwa v77, v15, s25 dst_sel:DWORD dst_unused:UNUSED_PAD src0_sel:WORD_1 src1_sel:DWORD
	v_add_f16_e32 v45, v46, v45
	v_fma_f16 v46, v30, s8, v95
	v_mul_f16_sdwa v96, v12, s23 dst_sel:DWORD dst_unused:UNUSED_PAD src0_sel:WORD_1 src1_sel:DWORD
	;; [unrolled: 3-line block ×5, first 2 shown]
	v_add_f16_e32 v45, v46, v45
	v_fma_f16 v46, v32, s15, v97
	v_add_f16_e32 v50, v51, v50
	v_fma_f16 v51, v30, s15, v79
	v_mul_f16_sdwa v80, v12, s24 dst_sel:DWORD dst_unused:UNUSED_PAD src0_sel:WORD_1 src1_sel:DWORD
	v_add_f16_e32 v69, v46, v45
	v_pk_mul_f16 v46, v29, s29 op_sel_hi:[1,0]
	v_add_f16_e32 v50, v51, v50
	v_fma_f16 v51, v31, s1, v80
	v_mul_f16_sdwa v81, v13, s7 dst_sel:DWORD dst_unused:UNUSED_PAD src0_sel:WORD_1 src1_sel:DWORD
	v_pk_fma_f16 v45, v22, s15, v46 op_sel:[0,0,1] op_sel_hi:[1,0,0]
	v_pk_fma_f16 v46, v22, s15, v46 op_sel:[0,0,1] op_sel_hi:[1,0,0] neg_lo:[0,0,1] neg_hi:[0,0,1]
	s_mov_b32 s28, 0xffff
	v_add_f16_e32 v50, v51, v50
	v_fma_f16 v51, v32, s18, v81
	v_bfi_b32 v48, s28, v45, v46
	v_pk_mul_f16 v49, v19, s30 op_sel_hi:[1,0]
	v_fma_f16 v62, v29, s26, v62
	v_add_f16_e32 v67, v51, v50
	v_pk_add_f16 v50, v4, v48
	v_pk_fma_f16 v48, v21, s21, v49 op_sel:[0,0,1] op_sel_hi:[1,0,0]
	v_pk_fma_f16 v49, v21, s21, v49 op_sel:[0,0,1] op_sel_hi:[1,0,0] neg_lo:[0,0,1] neg_hi:[0,0,1]
	v_add_f16_sdwa v62, v4, v62 dst_sel:DWORD dst_unused:UNUSED_PAD src0_sel:WORD_1 src1_sel:DWORD
	v_fma_f16 v63, v19, s22, v63
	v_bfi_b32 v51, s28, v48, v49
	v_add_f16_e32 v62, v63, v62
	v_fma_f16 v63, v20, s31, v64
	v_pk_add_f16 v52, v51, v50
	v_pk_mul_f16 v51, v20, s26 op_sel_hi:[1,0]
	v_add_f16_e32 v62, v63, v62
	v_fma_f16 v63, v15, s25, v65
	v_pk_fma_f16 v50, v18, s16, v51 op_sel:[0,0,1] op_sel_hi:[1,0,0]
	v_pk_fma_f16 v51, v18, s16, v51 op_sel:[0,0,1] op_sel_hi:[1,0,0] neg_lo:[0,0,1] neg_hi:[0,0,1]
	v_add_f16_e32 v62, v63, v62
	v_fma_f16 v63, v16, s14, v70
	v_bfi_b32 v53, s28, v50, v51
	v_add_f16_e32 v62, v63, v62
	v_fma_f16 v63, v11, s29, v71
	v_pk_add_f16 v54, v53, v52
	v_pk_mul_f16 v53, v15, s24 op_sel_hi:[1,0]
	v_add_f16_e32 v62, v63, v62
	v_fma_f16 v63, v12, s24, v72
	v_pk_fma_f16 v52, v17, s1, v53 op_sel:[0,0,1] op_sel_hi:[1,0,0]
	v_pk_fma_f16 v53, v17, s1, v53 op_sel:[0,0,1] op_sel_hi:[1,0,0] neg_lo:[0,0,1] neg_hi:[0,0,1]
	v_add_f16_e32 v62, v63, v62
	v_fma_f16 v63, v13, s7, v73
	v_bfi_b32 v55, s28, v52, v53
	v_add_f16_e32 v62, v63, v62
	v_fma_f16 v63, v22, s16, -v74
	v_pk_add_f16 v56, v55, v54
	v_pk_mul_f16 v55, v16, s17 op_sel_hi:[1,0]
	v_add_f16_e32 v63, v4, v63
	v_fma_f16 v64, v21, s19, -v75
	v_pk_fma_f16 v54, v14, s8, v55 op_sel:[0,0,1] op_sel_hi:[1,0,0]
	v_pk_fma_f16 v55, v14, s8, v55 op_sel:[0,0,1] op_sel_hi:[1,0,0] neg_lo:[0,0,1] neg_hi:[0,0,1]
	v_add_f16_e32 v63, v64, v63
	v_fma_f16 v64, v18, s9, -v76
	v_bfi_b32 v57, s28, v54, v55
	v_add_f16_e32 v63, v64, v63
	v_fma_f16 v64, v17, s8, -v77
	v_pk_add_f16 v58, v57, v56
	v_pk_mul_f16 v57, v11, s22 op_sel_hi:[1,0]
	v_add_f16_e32 v63, v64, v63
	v_fma_f16 v64, v14, s21, -v78
	v_pk_fma_f16 v56, v30, s19, v57 op_sel:[0,0,1] op_sel_hi:[1,0,0]
	v_pk_fma_f16 v57, v30, s19, v57 op_sel:[0,0,1] op_sel_hi:[1,0,0] neg_lo:[0,0,1] neg_hi:[0,0,1]
	v_add_f16_e32 v63, v64, v63
	v_fma_f16 v64, v30, s15, -v79
	v_bfi_b32 v59, s28, v56, v57
	v_add_f16_e32 v63, v64, v63
	v_fma_f16 v64, v31, s1, -v80
	v_pk_add_f16 v60, v59, v58
	v_pk_mul_f16 v59, v12, s7 op_sel_hi:[1,0]
	v_add_f16_e32 v63, v64, v63
	v_fma_f16 v64, v32, s18, -v81
	v_pk_fma_f16 v58, v31, s18, v59 op_sel:[0,0,1] op_sel_hi:[1,0,0]
	v_pk_fma_f16 v59, v31, s18, v59 op_sel:[0,0,1] op_sel_hi:[1,0,0] neg_lo:[0,0,1] neg_hi:[0,0,1]
	v_add_f16_e32 v63, v64, v63
	v_fma_f16 v64, v29, s30, v82
	v_bfi_b32 v61, s28, v58, v59
	v_add_f16_sdwa v64, v4, v64 dst_sel:DWORD dst_unused:UNUSED_PAD src0_sel:WORD_1 src1_sel:DWORD
	v_fma_f16 v65, v19, s24, v83
	v_pk_add_f16 v98, v61, v60
	v_pk_mul_f16 v61, v13, s0 op_sel_hi:[1,0]
	v_add_f16_e32 v64, v65, v64
	v_fma_f16 v65, v20, s22, v84
	v_pk_fma_f16 v60, v32, s9, v61 op_sel:[0,0,1] op_sel_hi:[1,0,0]
	v_pk_fma_f16 v61, v32, s9, v61 op_sel:[0,0,1] op_sel_hi:[1,0,0] neg_lo:[0,0,1] neg_hi:[0,0,1]
	v_add_f16_e32 v64, v65, v64
	v_fma_f16 v65, v15, s0, v85
	v_bfi_b32 v99, s28, v60, v61
	v_add_f16_e32 v64, v65, v64
	v_fma_f16 v65, v16, s27, v86
	v_pk_add_f16 v98, v99, v98
	v_add_f16_e32 v64, v65, v64
	v_fma_f16 v65, v11, s25, v87
	v_add_f16_e32 v64, v65, v64
	v_fma_f16 v65, v12, s23, v88
	ds_write2_b32 v28, v37, v98 offset1:1
	v_pack_b32_f16 v37, v67, v66
	v_pack_b32_f16 v66, v69, v68
	v_add_f16_e32 v64, v65, v64
	v_fma_f16 v65, v13, s6, v89
	ds_write2_b32 v28, v66, v37 offset0:2 offset1:3
	v_pack_b32_f16 v37, v43, v42
	v_pack_b32_f16 v42, v47, v44
	v_add_f16_e32 v64, v65, v64
	v_fma_f16 v65, v22, s21, -v90
	ds_write2_b32 v28, v42, v37 offset0:4 offset1:5
	v_pack_b32_f16 v37, v39, v38
	v_pack_b32_f16 v38, v41, v40
	v_pk_mul_f16 v22, v22, s9 op_sel_hi:[1,0]
	v_add_f16_e32 v65, v4, v65
	v_fma_f16 v70, v21, s1, -v91
	ds_write2_b32 v28, v38, v37 offset0:6 offset1:7
	v_pk_fma_f16 v37, v29, s0, v22 op_sel:[0,0,1] op_sel_hi:[1,0,0]
	v_pk_mul_f16 v21, v21, s15 op_sel_hi:[1,0]
	v_pk_fma_f16 v22, v29, s0, v22 op_sel:[0,0,1] op_sel_hi:[1,0,0] neg_lo:[1,0,0] neg_hi:[1,0,0]
	v_add_f16_e32 v65, v70, v65
	v_fma_f16 v70, v18, s19, -v92
	v_pk_fma_f16 v39, v19, s6, v21 op_sel:[0,0,1] op_sel_hi:[1,0,0]
	v_pk_mul_f16 v18, v18, s18 op_sel_hi:[1,0]
	v_pk_add_f16 v22, v4, v22 op_sel:[1,0] op_sel_hi:[0,1]
	v_pk_fma_f16 v19, v19, s6, v21 op_sel:[0,0,1] op_sel_hi:[1,0,0] neg_lo:[1,0,0] neg_hi:[1,0,0]
	v_add_f16_e32 v65, v70, v65
	v_fma_f16 v70, v17, s9, -v93
	v_pk_fma_f16 v40, v20, s7, v18 op_sel:[0,0,1] op_sel_hi:[1,0,0]
	v_pk_mul_f16 v17, v17, s21 op_sel_hi:[1,0]
	v_pk_add_f16 v19, v19, v22
	v_pk_fma_f16 v18, v20, s7, v18 op_sel:[0,0,1] op_sel_hi:[1,0,0] neg_lo:[1,0,0] neg_hi:[1,0,0]
	v_add_f16_e32 v65, v70, v65
	v_fma_f16 v70, v14, s18, -v94
	v_pk_fma_f16 v41, v15, s14, v17 op_sel:[0,0,1] op_sel_hi:[1,0,0]
	v_pk_mul_f16 v14, v14, s19 op_sel_hi:[1,0]
	v_pk_add_f16 v18, v18, v19
	;; [unrolled: 6-line block ×4, first 2 shown]
	v_pk_fma_f16 v11, v11, s23, v30 op_sel:[0,0,1] op_sel_hi:[1,0,0] neg_lo:[1,0,0] neg_hi:[1,0,0]
	v_fma_f16 v110, v32, s8, -v109
	v_add_f16_e32 v65, v70, v65
	v_fma_f16 v70, v32, s15, -v97
	v_pk_fma_f16 v44, v12, s17, v31 op_sel:[0,0,1] op_sel_hi:[1,0,0]
	v_pk_mul_f16 v32, v32, s1 op_sel_hi:[1,0]
	v_pk_add_f16 v11, v11, v14
	v_pk_fma_f16 v12, v12, s17, v31 op_sel:[0,0,1] op_sel_hi:[1,0,0] neg_lo:[1,0,0] neg_hi:[1,0,0]
	v_pk_add_f16 v11, v12, v11
	v_pk_fma_f16 v12, v13, s20, v32 op_sel:[0,0,1] op_sel_hi:[1,0,0] neg_lo:[1,0,0] neg_hi:[1,0,0]
	v_add_f16_e32 v65, v70, v65
	v_alignbit_b32 v38, s0, v4, 16
	v_pk_add_f16 v11, v12, v11
	v_alignbit_b32 v12, s0, v37, 16
	v_pack_b32_f16 v7, v8, v7
	v_pack_b32_f16 v8, v10, v9
	v_pk_add_f16 v38, v38, v37
	v_pk_fma_f16 v47, v13, s20, v32 op_sel:[0,0,1] op_sel_hi:[1,0,0]
	v_pk_add_f16 v12, v4, v12
	v_alignbit_b32 v13, s0, v39, 16
	ds_write2_b32 v28, v8, v7 offset0:12 offset1:13
	v_pack_b32_f16 v7, v65, v64
	v_pack_b32_f16 v8, v63, v62
	v_pk_add_f16 v38, v39, v38
	v_pk_add_f16 v12, v13, v12
	v_alignbit_b32 v13, s0, v40, 16
	ds_write2_b32 v28, v8, v7 offset0:14 offset1:15
	v_bfi_b32 v7, s28, v46, v45
	v_pk_add_f16 v38, v40, v38
	v_pk_add_f16 v12, v13, v12
	v_alignbit_b32 v13, s0, v41, 16
	v_pk_add_f16 v4, v4, v7
	v_bfi_b32 v7, s28, v49, v48
	v_pk_add_f16 v38, v41, v38
	v_pk_add_f16 v12, v13, v12
	v_alignbit_b32 v13, s0, v42, 16
	v_pk_add_f16 v4, v7, v4
	;; [unrolled: 5-line block ×5, first 2 shown]
	v_bfi_b32 v7, s28, v57, v56
	v_pk_add_f16 v38, v47, v38
	v_pk_add_f16 v12, v13, v12
	;; [unrolled: 1-line block ×3, first 2 shown]
	v_bfi_b32 v7, s28, v59, v58
	v_add_f16_e32 v36, v110, v36
	v_alignbit_b32 v13, v38, v11, 16
	v_pack_b32_f16 v11, v12, v11
	v_pk_add_f16 v4, v7, v4
	v_bfi_b32 v7, s28, v61, v60
	ds_write2_b32 v28, v11, v13 offset0:8 offset1:9
	v_pack_b32_f16 v11, v34, v33
	v_pack_b32_f16 v12, v36, v35
	v_pk_add_f16 v4, v7, v4
	ds_write2_b32 v28, v12, v11 offset0:10 offset1:11
	ds_write_b32 v28, v4 offset:64
.LBB0_14:
	s_or_b64 exec, exec, s[4:5]
	v_mul_u32_u24_e32 v4, 6, v3
	v_lshlrev_b32_e32 v4, 2, v4
	s_load_dwordx2 s[2:3], s[2:3], 0x0
	s_waitcnt lgkmcnt(0)
	; wave barrier
	s_waitcnt lgkmcnt(0)
	global_load_dwordx4 v[7:10], v4, s[12:13]
	global_load_dwordx2 v[11:12], v4, s[12:13] offset:16
	ds_read2_b32 v[13:14], v26 offset0:17 offset1:34
	ds_read2_b32 v[15:16], v26 offset0:51 offset1:68
	;; [unrolled: 1-line block ×6, first 2 shown]
	ds_read_b32 v4, v23
	ds_read_b32 v30, v26 offset:884
	s_waitcnt lgkmcnt(7)
	v_lshrrev_b32_e32 v40, 16, v14
	s_waitcnt lgkmcnt(3)
	v_lshrrev_b32_e32 v32, 16, v22
	s_waitcnt lgkmcnt(2)
	v_lshrrev_b32_e32 v33, 16, v29
	v_lshrrev_b32_e32 v41, 16, v16
	v_lshrrev_b32_e32 v31, 16, v20
	;; [unrolled: 1-line block ×8, first 2 shown]
	s_waitcnt lgkmcnt(0)
	v_lshrrev_b32_e32 v39, 16, v30
	s_movk_i32 s0, 0x2b26
	s_mov_b32 s1, 0xbb00
	s_mov_b32 s4, 0xbcab
	s_movk_i32 s5, 0x39e0
	s_mov_b32 s6, 0xb9e0
	s_mov_b32 s7, 0xb574
	s_movk_i32 s8, 0x3574
	s_mov_b32 s9, 0xb70e
	s_waitcnt lgkmcnt(0)
	; wave barrier
	v_lshl_add_u32 v24, v24, 2, v27
	s_waitcnt vmcnt(1)
	v_mul_f16_sdwa v43, v7, v40 dst_sel:DWORD dst_unused:UNUSED_PAD src0_sel:WORD_1 src1_sel:DWORD
	v_mul_f16_sdwa v44, v7, v14 dst_sel:DWORD dst_unused:UNUSED_PAD src0_sel:WORD_1 src1_sel:DWORD
	;; [unrolled: 1-line block ×4, first 2 shown]
	s_waitcnt vmcnt(0)
	v_mul_f16_sdwa v51, v32, v11 dst_sel:DWORD dst_unused:UNUSED_PAD src0_sel:DWORD src1_sel:WORD_1
	v_mul_f16_sdwa v52, v22, v11 dst_sel:DWORD dst_unused:UNUSED_PAD src0_sel:DWORD src1_sel:WORD_1
	;; [unrolled: 1-line block ×4, first 2 shown]
	v_mul_f16_sdwa v47, v9, v42 dst_sel:DWORD dst_unused:UNUSED_PAD src0_sel:WORD_1 src1_sel:DWORD
	v_mul_f16_sdwa v48, v9, v18 dst_sel:DWORD dst_unused:UNUSED_PAD src0_sel:WORD_1 src1_sel:DWORD
	v_mul_f16_sdwa v49, v31, v10 dst_sel:DWORD dst_unused:UNUSED_PAD src0_sel:DWORD src1_sel:WORD_1
	v_mul_f16_sdwa v50, v20, v10 dst_sel:DWORD dst_unused:UNUSED_PAD src0_sel:DWORD src1_sel:WORD_1
	;; [unrolled: 1-line block ×8, first 2 shown]
	v_fma_f16 v14, v7, v14, v43
	v_fma_f16 v40, v7, v40, -v44
	v_fma_f16 v16, v8, v16, v45
	v_fma_f16 v41, v8, v41, -v46
	;; [unrolled: 2-line block ×4, first 2 shown]
	v_mul_f16_sdwa v61, v37, v10 dst_sel:DWORD dst_unused:UNUSED_PAD src0_sel:DWORD src1_sel:WORD_1
	v_mul_f16_sdwa v62, v21, v10 dst_sel:DWORD dst_unused:UNUSED_PAD src0_sel:DWORD src1_sel:WORD_1
	v_mul_f16_sdwa v63, v38, v11 dst_sel:DWORD dst_unused:UNUSED_PAD src0_sel:DWORD src1_sel:WORD_1
	v_mul_f16_sdwa v64, v28, v11 dst_sel:DWORD dst_unused:UNUSED_PAD src0_sel:DWORD src1_sel:WORD_1
	v_fma_f16 v18, v9, v18, v47
	v_fma_f16 v42, v9, v42, -v48
	v_fma_f16 v20, v20, v10, v49
	v_fma_f16 v31, v31, v10, -v50
	;; [unrolled: 2-line block ×5, first 2 shown]
	v_add_f16_e32 v34, v14, v29
	v_add_f16_e32 v35, v40, v33
	v_sub_f16_e32 v14, v14, v29
	v_sub_f16_e32 v29, v40, v33
	v_add_f16_e32 v33, v16, v22
	v_add_f16_e32 v36, v41, v32
	v_mul_f16_sdwa v65, v39, v12 dst_sel:DWORD dst_unused:UNUSED_PAD src0_sel:DWORD src1_sel:WORD_1
	v_mul_f16_sdwa v66, v30, v12 dst_sel:DWORD dst_unused:UNUSED_PAD src0_sel:DWORD src1_sel:WORD_1
	v_fma_f16 v21, v21, v10, v61
	v_fma_f16 v10, v37, v10, -v62
	v_fma_f16 v28, v28, v11, v63
	v_fma_f16 v11, v38, v11, -v64
	v_sub_f16_e32 v16, v16, v22
	v_sub_f16_e32 v22, v41, v32
	v_add_f16_e32 v32, v18, v20
	v_add_f16_e32 v37, v42, v31
	v_sub_f16_e32 v18, v20, v18
	v_sub_f16_e32 v20, v31, v42
	v_add_f16_e32 v31, v33, v34
	v_add_f16_e32 v38, v36, v35
	v_fma_f16 v30, v30, v12, v65
	v_fma_f16 v12, v39, v12, -v66
	v_sub_f16_e32 v39, v33, v34
	v_sub_f16_e32 v40, v36, v35
	;; [unrolled: 1-line block ×6, first 2 shown]
	v_add_f16_e32 v41, v18, v16
	v_add_f16_e32 v42, v20, v22
	v_sub_f16_e32 v43, v18, v16
	v_sub_f16_e32 v44, v20, v22
	;; [unrolled: 1-line block ×4, first 2 shown]
	v_add_f16_e32 v31, v32, v31
	v_add_f16_e32 v32, v37, v38
	v_sub_f16_e32 v18, v14, v18
	v_sub_f16_e32 v20, v29, v20
	v_add_f16_e32 v14, v41, v14
	v_add_f16_e32 v29, v42, v29
	;; [unrolled: 1-line block ×3, first 2 shown]
	v_add_f16_sdwa v4, v32, v4 dst_sel:DWORD dst_unused:UNUSED_PAD src0_sel:DWORD src1_sel:WORD_1
	v_mul_f16_e32 v34, 0x3a52, v34
	v_mul_f16_e32 v35, 0x3a52, v35
	;; [unrolled: 1-line block ×8, first 2 shown]
	v_fma_f16 v31, v31, s4, v37
	v_fma_f16 v32, v32, s4, v4
	;; [unrolled: 1-line block ×4, first 2 shown]
	v_fma_f16 v38, v39, s5, -v38
	v_fma_f16 v41, v40, s5, -v41
	;; [unrolled: 1-line block ×4, first 2 shown]
	v_fma_f16 v39, v18, s7, v42
	v_fma_f16 v40, v20, s7, v43
	v_fma_f16 v16, v16, s1, -v42
	v_fma_f16 v18, v18, s8, -v44
	v_fma_f16 v20, v20, s8, -v45
	v_fma_f16 v22, v22, s1, -v43
	v_add_f16_e32 v33, v33, v31
	v_add_f16_e32 v36, v36, v32
	;; [unrolled: 1-line block ×6, first 2 shown]
	v_fma_f16 v34, v14, s9, v39
	v_fma_f16 v35, v29, s9, v40
	;; [unrolled: 1-line block ×6, first 2 shown]
	v_add_f16_e32 v20, v35, v33
	v_sub_f16_e32 v29, v36, v34
	v_add_f16_e32 v39, v18, v31
	v_sub_f16_e32 v40, v32, v14
	v_sub_f16_e32 v18, v31, v18
	v_add_f16_e32 v14, v14, v32
	v_sub_f16_e32 v31, v33, v35
	v_add_f16_e32 v32, v34, v36
	v_add_f16_e32 v33, v15, v30
	;; [unrolled: 1-line block ×3, first 2 shown]
	v_sub_f16_e32 v15, v15, v30
	v_sub_f16_e32 v7, v7, v12
	v_add_f16_e32 v12, v17, v28
	v_add_f16_e32 v30, v8, v11
	v_sub_f16_e32 v17, v17, v28
	v_sub_f16_e32 v8, v8, v11
	v_add_f16_e32 v11, v19, v21
	v_add_f16_e32 v28, v9, v10
	;; [unrolled: 4-line block ×3, first 2 shown]
	v_sub_f16_e32 v42, v38, v22
	v_add_f16_e32 v43, v16, v41
	v_add_f16_e32 v22, v22, v38
	v_sub_f16_e32 v16, v41, v16
	v_sub_f16_e32 v35, v12, v33
	;; [unrolled: 1-line block ×7, first 2 shown]
	v_add_f16_e32 v38, v19, v17
	v_add_f16_e32 v41, v9, v8
	v_sub_f16_e32 v44, v19, v17
	v_sub_f16_e32 v45, v9, v8
	;; [unrolled: 1-line block ×4, first 2 shown]
	v_add_f16_e32 v10, v11, v10
	v_add_f16_e32 v11, v28, v21
	v_sub_f16_e32 v19, v15, v19
	v_sub_f16_e32 v9, v7, v9
	v_add_f16_e32 v15, v38, v15
	v_add_f16_e32 v7, v41, v7
	;; [unrolled: 1-line block ×3, first 2 shown]
	v_add_f16_sdwa v13, v11, v13 dst_sel:DWORD dst_unused:UNUSED_PAD src0_sel:DWORD src1_sel:WORD_1
	v_mul_f16_e32 v28, 0x3a52, v33
	v_mul_f16_e32 v33, 0x3a52, v34
	;; [unrolled: 1-line block ×8, first 2 shown]
	v_fma_f16 v10, v10, s4, v21
	v_fma_f16 v11, v11, s4, v13
	;; [unrolled: 1-line block ×4, first 2 shown]
	v_fma_f16 v34, v35, s5, -v34
	v_fma_f16 v38, v36, s5, -v38
	;; [unrolled: 1-line block ×4, first 2 shown]
	v_fma_f16 v35, v19, s7, v41
	v_fma_f16 v36, v9, s7, v44
	v_fma_f16 v17, v17, s1, -v41
	v_fma_f16 v8, v8, s1, -v44
	;; [unrolled: 1-line block ×4, first 2 shown]
	v_add_f16_e32 v12, v12, v10
	v_add_f16_e32 v30, v30, v11
	;; [unrolled: 1-line block ×6, first 2 shown]
	v_fma_f16 v28, v15, s9, v35
	v_fma_f16 v33, v7, s9, v36
	;; [unrolled: 1-line block ×6, first 2 shown]
	v_add_f16_e32 v35, v7, v10
	v_sub_f16_e32 v36, v11, v15
	v_sub_f16_e32 v7, v10, v7
	v_add_f16_e32 v10, v15, v11
	v_pack_b32_f16 v4, v37, v4
	v_pack_b32_f16 v15, v20, v29
	ds_write2_b32 v26, v4, v15 offset1:17
	v_pack_b32_f16 v4, v39, v40
	v_pack_b32_f16 v15, v42, v43
	ds_write2_b32 v26, v4, v15 offset0:34 offset1:51
	v_pack_b32_f16 v4, v22, v16
	v_pack_b32_f16 v14, v18, v14
	v_add_f16_e32 v9, v33, v12
	v_sub_f16_e32 v19, v30, v28
	ds_write2_b32 v26, v4, v14 offset0:68 offset1:85
	v_pack_b32_f16 v4, v31, v32
	v_pack_b32_f16 v13, v21, v13
	v_sub_f16_e32 v41, v34, v8
	v_add_f16_e32 v44, v17, v38
	v_add_f16_e32 v8, v8, v34
	v_sub_f16_e32 v17, v38, v17
	ds_write2_b32 v26, v4, v13 offset0:102 offset1:119
	v_pack_b32_f16 v4, v9, v19
	v_pack_b32_f16 v9, v35, v36
	v_sub_f16_e32 v11, v12, v33
	v_add_f16_e32 v12, v28, v30
	ds_write2_b32 v26, v4, v9 offset0:136 offset1:153
	v_pack_b32_f16 v4, v41, v44
	v_pack_b32_f16 v8, v8, v17
	ds_write2_b32 v26, v4, v8 offset0:170 offset1:187
	v_pack_b32_f16 v4, v7, v10
	v_pack_b32_f16 v7, v11, v12
	ds_write2_b32 v26, v4, v7 offset0:204 offset1:221
	v_mov_b32_e32 v4, 0
	v_lshlrev_b64 v[7:8], 2, v[3:4]
	v_mov_b32_e32 v4, s13
	v_add_co_u32_e64 v9, s[0:1], s12, v7
	v_addc_co_u32_e64 v10, s[0:1], v4, v8, s[0:1]
	s_waitcnt lgkmcnt(0)
	; wave barrier
	s_waitcnt lgkmcnt(0)
	global_load_dword v4, v[9:10], off offset:408
	global_load_dword v28, v[9:10], off offset:476
	;; [unrolled: 1-line block ×7, first 2 shown]
	ds_read2_b32 v[11:12], v26 offset0:119 offset1:136
	ds_read2_b32 v[13:14], v26 offset0:17 offset1:34
	;; [unrolled: 1-line block ×6, first 2 shown]
	ds_read_b32 v35, v23
	s_mov_b32 s4, 0xffff
	v_cmp_ne_u32_e64 s[0:1], 0, v3
	s_waitcnt vmcnt(6) lgkmcnt(6)
	v_pk_mul_f16 v27, v4, v11 op_sel:[0,1]
	v_pk_fma_f16 v34, v4, v11, v27 op_sel:[0,0,1] op_sel_hi:[1,1,0]
	v_pk_fma_f16 v4, v4, v11, v27 op_sel:[0,0,1] op_sel_hi:[1,0,0] neg_lo:[1,0,0] neg_hi:[1,0,0]
	ds_read_b32 v11, v26 offset:884
	v_bfi_b32 v4, s4, v34, v4
	s_waitcnt lgkmcnt(1)
	v_pk_add_f16 v4, v35, v4 neg_lo:[0,1] neg_hi:[0,1]
	s_waitcnt vmcnt(5)
	v_pk_mul_f16 v34, v28, v12 op_sel:[0,1]
	v_pk_fma_f16 v27, v35, 2.0, v4 op_sel_hi:[1,0,1] neg_lo:[0,0,1] neg_hi:[0,0,1]
	v_pk_fma_f16 v35, v28, v12, v34 op_sel:[0,0,1] op_sel_hi:[1,1,0]
	v_pk_fma_f16 v12, v28, v12, v34 op_sel:[0,0,1] op_sel_hi:[1,0,0] neg_lo:[1,0,0] neg_hi:[1,0,0]
	s_waitcnt vmcnt(4)
	v_pk_mul_f16 v28, v29, v15 op_sel:[0,1]
	v_pk_fma_f16 v34, v29, v15, v28 op_sel:[0,0,1] op_sel_hi:[1,1,0]
	v_pk_fma_f16 v15, v29, v15, v28 op_sel:[0,0,1] op_sel_hi:[1,0,0] neg_lo:[1,0,0] neg_hi:[1,0,0]
	s_waitcnt vmcnt(3)
	v_pk_mul_f16 v28, v30, v16 op_sel:[0,1]
	;; [unrolled: 4-line block ×3, first 2 shown]
	v_bfi_b32 v16, s4, v29, v16
	v_pk_fma_f16 v29, v32, v19, v28 op_sel:[0,0,1] op_sel_hi:[1,1,0]
	v_pk_fma_f16 v19, v32, v19, v28 op_sel:[0,0,1] op_sel_hi:[1,0,0] neg_lo:[1,0,0] neg_hi:[1,0,0]
	s_waitcnt vmcnt(0)
	v_pk_mul_f16 v28, v20, v33 op_sel:[0,1]
	v_bfi_b32 v19, s4, v29, v19
	v_pk_fma_f16 v29, v20, v33, v28 op_sel:[0,0,1] op_sel_hi:[1,1,0]
	v_pk_fma_f16 v20, v20, v33, v28 op_sel:[0,0,1] op_sel_hi:[1,0,0] neg_lo:[0,0,1] neg_hi:[0,0,1]
	s_waitcnt lgkmcnt(0)
	v_pk_mul_f16 v28, v11, v31 op_sel:[0,1]
	v_bfi_b32 v12, s4, v35, v12
	v_bfi_b32 v15, s4, v34, v15
	;; [unrolled: 1-line block ×3, first 2 shown]
	v_pk_fma_f16 v29, v11, v31, v28 op_sel:[0,0,1] op_sel_hi:[1,1,0]
	v_pk_fma_f16 v11, v11, v31, v28 op_sel:[0,0,1] op_sel_hi:[1,0,0] neg_lo:[0,0,1] neg_hi:[0,0,1]
	v_pk_add_f16 v12, v13, v12 neg_lo:[0,1] neg_hi:[0,1]
	v_pk_add_f16 v15, v14, v15 neg_lo:[0,1] neg_hi:[0,1]
	v_bfi_b32 v11, s4, v29, v11
	v_pk_fma_f16 v13, v13, 2.0, v12 op_sel_hi:[1,0,1] neg_lo:[0,0,1] neg_hi:[0,0,1]
	v_pk_fma_f16 v14, v14, 2.0, v15 op_sel_hi:[1,0,1] neg_lo:[0,0,1] neg_hi:[0,0,1]
	v_pk_add_f16 v16, v17, v16 neg_lo:[0,1] neg_hi:[0,1]
	v_pk_add_f16 v19, v18, v19 neg_lo:[0,1] neg_hi:[0,1]
	;; [unrolled: 1-line block ×4, first 2 shown]
	v_pk_fma_f16 v17, v17, 2.0, v16 op_sel_hi:[1,0,1] neg_lo:[0,0,1] neg_hi:[0,0,1]
	v_pk_fma_f16 v18, v18, 2.0, v19 op_sel_hi:[1,0,1] neg_lo:[0,0,1] neg_hi:[0,0,1]
	v_pk_fma_f16 v21, v21, 2.0, v20 op_sel_hi:[1,0,1] neg_lo:[0,0,1] neg_hi:[0,0,1]
	v_pk_fma_f16 v22, v22, 2.0, v11 op_sel_hi:[1,0,1] neg_lo:[0,0,1] neg_hi:[0,0,1]
	s_waitcnt lgkmcnt(0)
	; wave barrier
	ds_write2_b32 v26, v27, v13 offset1:17
	ds_write2_b32 v24, v12, v15 offset0:136 offset1:153
	ds_write2_b32 v26, v14, v17 offset0:34 offset1:51
	;; [unrolled: 1-line block ×6, first 2 shown]
	s_waitcnt lgkmcnt(0)
	; wave barrier
	s_waitcnt lgkmcnt(0)
	ds_read_b32 v14, v23
	v_sub_u32_e32 v4, v0, v25
                                        ; implicit-def: $vgpr12
                                        ; implicit-def: $vgpr11
                                        ; implicit-def: $vgpr13
	s_and_saveexec_b64 s[6:7], s[0:1]
	s_xor_b64 s[0:1], exec, s[6:7]
	s_cbranch_execz .LBB0_16
; %bb.15:
	global_load_dword v9, v[9:10], off offset:884
	ds_read_b32 v10, v4 offset:952
	s_waitcnt lgkmcnt(0)
	v_pk_add_f16 v11, v14, v10 neg_lo:[0,1] neg_hi:[0,1]
	v_pk_add_f16 v10, v10, v14
	v_bfi_b32 v12, s4, v11, v10
	v_bfi_b32 v10, s4, v10, v11
	v_pk_mul_f16 v11, v12, 0.5 op_sel_hi:[1,0]
	v_pk_mul_f16 v12, v10, 0.5 op_sel_hi:[1,0]
                                        ; implicit-def: $vgpr14
	s_waitcnt vmcnt(0)
	v_pk_mul_f16 v13, v9, v11 op_sel:[1,0]
	v_pk_mul_f16 v9, v9, v11 op_sel_hi:[0,1]
	v_pk_fma_f16 v10, v10, 0.5, v13 op_sel_hi:[1,0,1]
	v_sub_f16_e32 v11, v12, v13
	v_sub_f16_sdwa v13, v13, v12 dst_sel:DWORD dst_unused:UNUSED_PAD src0_sel:WORD_1 src1_sel:WORD_1
	v_pk_add_f16 v12, v10, v9 op_sel:[0,1] op_sel_hi:[1,0]
	v_pk_add_f16 v10, v10, v9 op_sel:[0,1] op_sel_hi:[1,0] neg_lo:[0,1] neg_hi:[0,1]
	v_sub_f16_sdwa v11, v11, v9 dst_sel:DWORD dst_unused:UNUSED_PAD src0_sel:DWORD src1_sel:WORD_1
	v_bfi_b32 v12, s4, v12, v10
	v_sub_f16_e32 v13, v13, v9
.LBB0_16:
	s_andn2_saveexec_b64 s[0:1], s[0:1]
	s_cbranch_execz .LBB0_18
; %bb.17:
	ds_read_u16 v9, v0 offset:478
	s_waitcnt lgkmcnt(1)
	v_alignbit_b32 v10, s0, v14, 16
	v_pk_add_f16 v10, v10, v14
	v_sub_f16_sdwa v11, v14, v14 dst_sel:DWORD dst_unused:UNUSED_PAD src0_sel:DWORD src1_sel:WORD_1
	v_pack_b32_f16 v12, v10, 0
	s_waitcnt lgkmcnt(0)
	v_xor_b32_e32 v9, 0x8000, v9
	v_mov_b32_e32 v13, 0
	ds_write_b16 v0, v9 offset:478
.LBB0_18:
	s_or_b64 exec, exec, s[0:1]
	s_add_u32 s0, s12, 0x374
	s_addc_u32 s1, s13, 0
	v_mov_b32_e32 v9, s1
	v_add_co_u32_e64 v7, s[0:1], s0, v7
	v_addc_co_u32_e64 v8, s[0:1], v9, v8, s[0:1]
	global_load_dword v9, v[7:8], off offset:68
	global_load_dword v10, v[7:8], off offset:136
	s_waitcnt lgkmcnt(0)
	global_load_dword v14, v[7:8], off offset:204
	ds_write_b16 v4, v13 offset:954
	ds_write_b32 v23, v12
	ds_write_b16 v4, v11 offset:952
	ds_read_b32 v11, v23 offset:68
	ds_read_b32 v12, v4 offset:884
	global_load_dword v13, v[7:8], off offset:272
	global_load_dword v15, v[7:8], off offset:340
	;; [unrolled: 1-line block ×3, first 2 shown]
	s_mov_b32 s0, 0xffff
	s_waitcnt lgkmcnt(0)
	v_pk_add_f16 v7, v11, v12 neg_lo:[0,1] neg_hi:[0,1]
	v_pk_add_f16 v8, v11, v12
	v_bfi_b32 v11, s0, v7, v8
	v_bfi_b32 v7, s0, v8, v7
	v_pk_mul_f16 v8, v11, 0.5 op_sel_hi:[1,0]
	v_pk_mul_f16 v11, v7, 0.5 op_sel_hi:[1,0]
	s_waitcnt vmcnt(5)
	v_pk_mul_f16 v12, v9, v8 op_sel:[1,0]
	v_pk_mul_f16 v8, v9, v8 op_sel_hi:[0,1]
	v_pk_fma_f16 v7, v7, 0.5, v12 op_sel_hi:[1,0,1]
	v_sub_f16_e32 v9, v11, v12
	v_sub_f16_sdwa v11, v12, v11 dst_sel:DWORD dst_unused:UNUSED_PAD src0_sel:WORD_1 src1_sel:WORD_1
	v_pk_add_f16 v12, v7, v8 op_sel:[0,1] op_sel_hi:[1,0]
	v_pk_add_f16 v7, v7, v8 op_sel:[0,1] op_sel_hi:[1,0] neg_lo:[0,1] neg_hi:[0,1]
	v_sub_f16_sdwa v9, v9, v8 dst_sel:DWORD dst_unused:UNUSED_PAD src0_sel:DWORD src1_sel:WORD_1
	v_sub_f16_e32 v8, v11, v8
	v_bfi_b32 v7, s0, v12, v7
	ds_write_b16 v4, v8 offset:886
	ds_write_b32 v23, v7 offset:68
	ds_write_b16 v4, v9 offset:884
	ds_read_b32 v7, v23 offset:136
	ds_read_b32 v8, v4 offset:816
	s_waitcnt lgkmcnt(0)
	v_pk_add_f16 v9, v7, v8 neg_lo:[0,1] neg_hi:[0,1]
	v_pk_add_f16 v7, v7, v8
	v_bfi_b32 v8, s0, v9, v7
	v_bfi_b32 v7, s0, v7, v9
	v_pk_mul_f16 v8, v8, 0.5 op_sel_hi:[1,0]
	v_pk_mul_f16 v9, v7, 0.5 op_sel_hi:[1,0]
	s_waitcnt vmcnt(4)
	v_pk_mul_f16 v11, v10, v8 op_sel:[1,0]
	v_pk_mul_f16 v8, v10, v8 op_sel_hi:[0,1]
	v_pk_fma_f16 v7, v7, 0.5, v11 op_sel_hi:[1,0,1]
	v_sub_f16_e32 v10, v9, v11
	v_sub_f16_sdwa v9, v11, v9 dst_sel:DWORD dst_unused:UNUSED_PAD src0_sel:WORD_1 src1_sel:WORD_1
	v_pk_add_f16 v11, v7, v8 op_sel:[0,1] op_sel_hi:[1,0]
	v_pk_add_f16 v7, v7, v8 op_sel:[0,1] op_sel_hi:[1,0] neg_lo:[0,1] neg_hi:[0,1]
	v_sub_f16_sdwa v10, v10, v8 dst_sel:DWORD dst_unused:UNUSED_PAD src0_sel:DWORD src1_sel:WORD_1
	v_sub_f16_e32 v8, v9, v8
	v_bfi_b32 v7, s0, v11, v7
	ds_write_b16 v4, v8 offset:818
	ds_write_b32 v23, v7 offset:136
	ds_write_b16 v4, v10 offset:816
	ds_read_b32 v7, v23 offset:204
	ds_read_b32 v8, v4 offset:748
	s_waitcnt lgkmcnt(0)
	v_pk_add_f16 v9, v7, v8 neg_lo:[0,1] neg_hi:[0,1]
	v_pk_add_f16 v7, v7, v8
	v_bfi_b32 v8, s0, v9, v7
	v_bfi_b32 v7, s0, v7, v9
	v_pk_mul_f16 v8, v8, 0.5 op_sel_hi:[1,0]
	v_pk_mul_f16 v9, v7, 0.5 op_sel_hi:[1,0]
	s_waitcnt vmcnt(3)
	v_pk_mul_f16 v10, v14, v8 op_sel:[1,0]
	v_pk_mul_f16 v8, v14, v8 op_sel_hi:[0,1]
	v_pk_fma_f16 v7, v7, 0.5, v10 op_sel_hi:[1,0,1]
	v_sub_f16_e32 v11, v9, v10
	v_sub_f16_sdwa v9, v10, v9 dst_sel:DWORD dst_unused:UNUSED_PAD src0_sel:WORD_1 src1_sel:WORD_1
	v_pk_add_f16 v10, v7, v8 op_sel:[0,1] op_sel_hi:[1,0]
	v_pk_add_f16 v7, v7, v8 op_sel:[0,1] op_sel_hi:[1,0] neg_lo:[0,1] neg_hi:[0,1]
	v_sub_f16_sdwa v11, v11, v8 dst_sel:DWORD dst_unused:UNUSED_PAD src0_sel:DWORD src1_sel:WORD_1
	v_sub_f16_e32 v8, v9, v8
	v_bfi_b32 v7, s0, v10, v7
	ds_write_b16 v4, v8 offset:750
	ds_write_b32 v23, v7 offset:204
	ds_write_b16 v4, v11 offset:748
	ds_read_b32 v7, v23 offset:272
	ds_read_b32 v8, v4 offset:680
	s_waitcnt lgkmcnt(0)
	v_pk_add_f16 v9, v7, v8 neg_lo:[0,1] neg_hi:[0,1]
	v_pk_add_f16 v7, v7, v8
	v_bfi_b32 v8, s0, v9, v7
	v_bfi_b32 v7, s0, v7, v9
	v_pk_mul_f16 v8, v8, 0.5 op_sel_hi:[1,0]
	v_pk_mul_f16 v9, v7, 0.5 op_sel_hi:[1,0]
	s_waitcnt vmcnt(2)
	v_pk_mul_f16 v10, v13, v8 op_sel:[1,0]
	v_pk_mul_f16 v8, v13, v8 op_sel_hi:[0,1]
	v_pk_fma_f16 v7, v7, 0.5, v10 op_sel_hi:[1,0,1]
	v_sub_f16_e32 v11, v9, v10
	v_sub_f16_sdwa v9, v10, v9 dst_sel:DWORD dst_unused:UNUSED_PAD src0_sel:WORD_1 src1_sel:WORD_1
	v_pk_add_f16 v10, v7, v8 op_sel:[0,1] op_sel_hi:[1,0]
	v_pk_add_f16 v7, v7, v8 op_sel:[0,1] op_sel_hi:[1,0] neg_lo:[0,1] neg_hi:[0,1]
	v_sub_f16_sdwa v11, v11, v8 dst_sel:DWORD dst_unused:UNUSED_PAD src0_sel:DWORD src1_sel:WORD_1
	v_sub_f16_e32 v8, v9, v8
	v_bfi_b32 v7, s0, v10, v7
	ds_write_b16 v4, v8 offset:682
	ds_write_b32 v23, v7 offset:272
	ds_write_b16 v4, v11 offset:680
	ds_read_b32 v7, v23 offset:340
	ds_read_b32 v8, v4 offset:612
	s_waitcnt lgkmcnt(0)
	v_pk_add_f16 v9, v7, v8 neg_lo:[0,1] neg_hi:[0,1]
	v_pk_add_f16 v7, v7, v8
	v_bfi_b32 v8, s0, v9, v7
	v_bfi_b32 v7, s0, v7, v9
	v_pk_mul_f16 v8, v8, 0.5 op_sel_hi:[1,0]
	v_pk_mul_f16 v7, v7, 0.5 op_sel_hi:[1,0]
	s_waitcnt vmcnt(1)
	v_pk_fma_f16 v9, v15, v8, v7 op_sel:[1,0,0]
	v_pk_mul_f16 v10, v15, v8 op_sel_hi:[0,1]
	v_pk_fma_f16 v11, v15, v8, v7 op_sel:[1,0,0] neg_lo:[1,0,0] neg_hi:[1,0,0]
	v_pk_fma_f16 v7, v15, v8, v7 op_sel:[1,0,0] neg_lo:[0,0,1] neg_hi:[0,0,1]
	v_pk_add_f16 v8, v9, v10 op_sel:[0,1] op_sel_hi:[1,0]
	v_pk_add_f16 v9, v9, v10 op_sel:[0,1] op_sel_hi:[1,0] neg_lo:[0,1] neg_hi:[0,1]
	v_pk_add_f16 v11, v11, v10 op_sel:[0,1] op_sel_hi:[1,0] neg_lo:[0,1] neg_hi:[0,1]
	;; [unrolled: 1-line block ×3, first 2 shown]
	v_bfi_b32 v8, s0, v8, v9
	v_bfi_b32 v7, s0, v11, v7
	ds_write_b32 v23, v8 offset:340
	ds_write_b32 v4, v7 offset:612
	ds_read_b32 v7, v23 offset:408
	ds_read_b32 v8, v4 offset:544
	s_waitcnt lgkmcnt(0)
	v_pk_add_f16 v9, v7, v8 neg_lo:[0,1] neg_hi:[0,1]
	v_pk_add_f16 v7, v7, v8
	v_bfi_b32 v8, s0, v9, v7
	v_bfi_b32 v7, s0, v7, v9
	v_pk_mul_f16 v8, v8, 0.5 op_sel_hi:[1,0]
	v_pk_mul_f16 v7, v7, 0.5 op_sel_hi:[1,0]
	s_waitcnt vmcnt(0)
	v_pk_fma_f16 v9, v16, v8, v7 op_sel:[1,0,0]
	v_pk_mul_f16 v10, v16, v8 op_sel_hi:[0,1]
	v_pk_fma_f16 v11, v16, v8, v7 op_sel:[1,0,0] neg_lo:[1,0,0] neg_hi:[1,0,0]
	v_pk_fma_f16 v7, v16, v8, v7 op_sel:[1,0,0] neg_lo:[0,0,1] neg_hi:[0,0,1]
	v_pk_add_f16 v8, v9, v10 op_sel:[0,1] op_sel_hi:[1,0]
	v_pk_add_f16 v9, v9, v10 op_sel:[0,1] op_sel_hi:[1,0] neg_lo:[0,1] neg_hi:[0,1]
	v_pk_add_f16 v11, v11, v10 op_sel:[0,1] op_sel_hi:[1,0] neg_lo:[0,1] neg_hi:[0,1]
	;; [unrolled: 1-line block ×3, first 2 shown]
	v_bfi_b32 v8, s0, v8, v9
	v_bfi_b32 v7, s0, v11, v7
	ds_write_b32 v23, v8 offset:408
	ds_write_b32 v4, v7 offset:544
	s_waitcnt lgkmcnt(0)
	; wave barrier
	s_waitcnt lgkmcnt(0)
	s_and_saveexec_b64 s[0:1], vcc
	s_cbranch_execz .LBB0_21
; %bb.19:
	v_mul_lo_u32 v4, s3, v5
	v_mul_lo_u32 v8, s2, v6
	v_mad_u64_u32 v[6:7], s[0:1], s2, v5, 0
	v_lshl_add_u32 v5, v3, 2, v0
	v_mov_b32_e32 v0, s11
	v_add3_u32 v7, v7, v8, v4
	v_lshlrev_b64 v[6:7], 2, v[6:7]
	v_mov_b32_e32 v4, 0
	v_add_co_u32_e32 v6, vcc, s10, v6
	v_addc_co_u32_e32 v7, vcc, v0, v7, vcc
	v_lshlrev_b64 v[0:1], 2, v[1:2]
	ds_read2_b32 v[8:9], v5 offset1:17
	v_add_co_u32_e32 v0, vcc, v6, v0
	v_addc_co_u32_e32 v1, vcc, v7, v1, vcc
	v_lshlrev_b64 v[6:7], 2, v[3:4]
	v_add_co_u32_e32 v6, vcc, v0, v6
	v_addc_co_u32_e32 v7, vcc, v1, v7, vcc
	s_waitcnt lgkmcnt(0)
	global_store_dword v[6:7], v8, off
	v_add_u32_e32 v6, 17, v3
	v_mov_b32_e32 v7, v4
	v_lshlrev_b64 v[6:7], 2, v[6:7]
	v_add_co_u32_e32 v6, vcc, v0, v6
	v_addc_co_u32_e32 v7, vcc, v1, v7, vcc
	global_store_dword v[6:7], v9, off
	v_add_u32_e32 v6, 34, v3
	v_mov_b32_e32 v7, v4
	ds_read2_b32 v[8:9], v5 offset0:34 offset1:51
	v_lshlrev_b64 v[6:7], 2, v[6:7]
	v_add_co_u32_e32 v6, vcc, v0, v6
	v_addc_co_u32_e32 v7, vcc, v1, v7, vcc
	s_waitcnt lgkmcnt(0)
	global_store_dword v[6:7], v8, off
	v_add_u32_e32 v6, 51, v3
	v_mov_b32_e32 v7, v4
	v_lshlrev_b64 v[6:7], 2, v[6:7]
	v_add_co_u32_e32 v6, vcc, v0, v6
	v_addc_co_u32_e32 v7, vcc, v1, v7, vcc
	global_store_dword v[6:7], v9, off
	v_add_u32_e32 v6, 0x44, v3
	v_mov_b32_e32 v7, v4
	ds_read2_b32 v[8:9], v5 offset0:68 offset1:85
	;; [unrolled: 14-line block ×6, first 2 shown]
	v_lshlrev_b64 v[6:7], 2, v[6:7]
	v_add_co_u32_e32 v6, vcc, v0, v6
	v_addc_co_u32_e32 v7, vcc, v1, v7, vcc
	s_waitcnt lgkmcnt(0)
	global_store_dword v[6:7], v8, off
	v_add_u32_e32 v6, 0xdd, v3
	v_mov_b32_e32 v7, v4
	v_lshlrev_b64 v[6:7], 2, v[6:7]
	v_add_co_u32_e32 v6, vcc, v0, v6
	v_addc_co_u32_e32 v7, vcc, v1, v7, vcc
	v_cmp_eq_u32_e32 vcc, 16, v3
	global_store_dword v[6:7], v9, off
	s_and_b64 exec, exec, vcc
	s_cbranch_execz .LBB0_21
; %bb.20:
	ds_read_b32 v2, v5 offset:888
	s_waitcnt lgkmcnt(0)
	global_store_dword v[0:1], v2, off offset:952
.LBB0_21:
	s_endpgm
	.section	.rodata,"a",@progbits
	.p2align	6, 0x0
	.amdhsa_kernel fft_rtc_back_len238_factors_17_7_2_wgs_51_tpt_17_halfLds_half_op_CI_CI_unitstride_sbrr_R2C_dirReg
		.amdhsa_group_segment_fixed_size 0
		.amdhsa_private_segment_fixed_size 0
		.amdhsa_kernarg_size 104
		.amdhsa_user_sgpr_count 6
		.amdhsa_user_sgpr_private_segment_buffer 1
		.amdhsa_user_sgpr_dispatch_ptr 0
		.amdhsa_user_sgpr_queue_ptr 0
		.amdhsa_user_sgpr_kernarg_segment_ptr 1
		.amdhsa_user_sgpr_dispatch_id 0
		.amdhsa_user_sgpr_flat_scratch_init 0
		.amdhsa_user_sgpr_private_segment_size 0
		.amdhsa_uses_dynamic_stack 0
		.amdhsa_system_sgpr_private_segment_wavefront_offset 0
		.amdhsa_system_sgpr_workgroup_id_x 1
		.amdhsa_system_sgpr_workgroup_id_y 0
		.amdhsa_system_sgpr_workgroup_id_z 0
		.amdhsa_system_sgpr_workgroup_info 0
		.amdhsa_system_vgpr_workitem_id 0
		.amdhsa_next_free_vgpr 111
		.amdhsa_next_free_sgpr 32
		.amdhsa_reserve_vcc 1
		.amdhsa_reserve_flat_scratch 0
		.amdhsa_float_round_mode_32 0
		.amdhsa_float_round_mode_16_64 0
		.amdhsa_float_denorm_mode_32 3
		.amdhsa_float_denorm_mode_16_64 3
		.amdhsa_dx10_clamp 1
		.amdhsa_ieee_mode 1
		.amdhsa_fp16_overflow 0
		.amdhsa_exception_fp_ieee_invalid_op 0
		.amdhsa_exception_fp_denorm_src 0
		.amdhsa_exception_fp_ieee_div_zero 0
		.amdhsa_exception_fp_ieee_overflow 0
		.amdhsa_exception_fp_ieee_underflow 0
		.amdhsa_exception_fp_ieee_inexact 0
		.amdhsa_exception_int_div_zero 0
	.end_amdhsa_kernel
	.text
.Lfunc_end0:
	.size	fft_rtc_back_len238_factors_17_7_2_wgs_51_tpt_17_halfLds_half_op_CI_CI_unitstride_sbrr_R2C_dirReg, .Lfunc_end0-fft_rtc_back_len238_factors_17_7_2_wgs_51_tpt_17_halfLds_half_op_CI_CI_unitstride_sbrr_R2C_dirReg
                                        ; -- End function
	.section	.AMDGPU.csdata,"",@progbits
; Kernel info:
; codeLenInByte = 10712
; NumSgprs: 36
; NumVgprs: 111
; ScratchSize: 0
; MemoryBound: 0
; FloatMode: 240
; IeeeMode: 1
; LDSByteSize: 0 bytes/workgroup (compile time only)
; SGPRBlocks: 4
; VGPRBlocks: 27
; NumSGPRsForWavesPerEU: 36
; NumVGPRsForWavesPerEU: 111
; Occupancy: 2
; WaveLimiterHint : 1
; COMPUTE_PGM_RSRC2:SCRATCH_EN: 0
; COMPUTE_PGM_RSRC2:USER_SGPR: 6
; COMPUTE_PGM_RSRC2:TRAP_HANDLER: 0
; COMPUTE_PGM_RSRC2:TGID_X_EN: 1
; COMPUTE_PGM_RSRC2:TGID_Y_EN: 0
; COMPUTE_PGM_RSRC2:TGID_Z_EN: 0
; COMPUTE_PGM_RSRC2:TIDIG_COMP_CNT: 0
	.type	__hip_cuid_b718b4931ac34068,@object ; @__hip_cuid_b718b4931ac34068
	.section	.bss,"aw",@nobits
	.globl	__hip_cuid_b718b4931ac34068
__hip_cuid_b718b4931ac34068:
	.byte	0                               ; 0x0
	.size	__hip_cuid_b718b4931ac34068, 1

	.ident	"AMD clang version 19.0.0git (https://github.com/RadeonOpenCompute/llvm-project roc-6.4.0 25133 c7fe45cf4b819c5991fe208aaa96edf142730f1d)"
	.section	".note.GNU-stack","",@progbits
	.addrsig
	.addrsig_sym __hip_cuid_b718b4931ac34068
	.amdgpu_metadata
---
amdhsa.kernels:
  - .args:
      - .actual_access:  read_only
        .address_space:  global
        .offset:         0
        .size:           8
        .value_kind:     global_buffer
      - .offset:         8
        .size:           8
        .value_kind:     by_value
      - .actual_access:  read_only
        .address_space:  global
        .offset:         16
        .size:           8
        .value_kind:     global_buffer
      - .actual_access:  read_only
        .address_space:  global
        .offset:         24
        .size:           8
        .value_kind:     global_buffer
      - .actual_access:  read_only
        .address_space:  global
        .offset:         32
        .size:           8
        .value_kind:     global_buffer
      - .offset:         40
        .size:           8
        .value_kind:     by_value
      - .actual_access:  read_only
        .address_space:  global
        .offset:         48
        .size:           8
        .value_kind:     global_buffer
      - .actual_access:  read_only
        .address_space:  global
        .offset:         56
        .size:           8
        .value_kind:     global_buffer
      - .offset:         64
        .size:           4
        .value_kind:     by_value
      - .actual_access:  read_only
        .address_space:  global
        .offset:         72
        .size:           8
        .value_kind:     global_buffer
      - .actual_access:  read_only
        .address_space:  global
        .offset:         80
        .size:           8
        .value_kind:     global_buffer
      - .actual_access:  read_only
        .address_space:  global
        .offset:         88
        .size:           8
        .value_kind:     global_buffer
      - .actual_access:  write_only
        .address_space:  global
        .offset:         96
        .size:           8
        .value_kind:     global_buffer
    .group_segment_fixed_size: 0
    .kernarg_segment_align: 8
    .kernarg_segment_size: 104
    .language:       OpenCL C
    .language_version:
      - 2
      - 0
    .max_flat_workgroup_size: 51
    .name:           fft_rtc_back_len238_factors_17_7_2_wgs_51_tpt_17_halfLds_half_op_CI_CI_unitstride_sbrr_R2C_dirReg
    .private_segment_fixed_size: 0
    .sgpr_count:     36
    .sgpr_spill_count: 0
    .symbol:         fft_rtc_back_len238_factors_17_7_2_wgs_51_tpt_17_halfLds_half_op_CI_CI_unitstride_sbrr_R2C_dirReg.kd
    .uniform_work_group_size: 1
    .uses_dynamic_stack: false
    .vgpr_count:     111
    .vgpr_spill_count: 0
    .wavefront_size: 64
amdhsa.target:   amdgcn-amd-amdhsa--gfx906
amdhsa.version:
  - 1
  - 2
...

	.end_amdgpu_metadata
